;; amdgpu-corpus repo=ROCm/rocFFT kind=compiled arch=gfx1030 opt=O3
	.text
	.amdgcn_target "amdgcn-amd-amdhsa--gfx1030"
	.amdhsa_code_object_version 6
	.protected	bluestein_single_back_len4704_dim1_half_op_CI_CI ; -- Begin function bluestein_single_back_len4704_dim1_half_op_CI_CI
	.globl	bluestein_single_back_len4704_dim1_half_op_CI_CI
	.p2align	8
	.type	bluestein_single_back_len4704_dim1_half_op_CI_CI,@function
bluestein_single_back_len4704_dim1_half_op_CI_CI: ; @bluestein_single_back_len4704_dim1_half_op_CI_CI
; %bb.0:
	s_load_dwordx4 s[12:15], s[4:5], 0x28
	v_mul_u32_u24_e32 v1, 0x125, v0
	v_mov_b32_e32 v32, 0
	s_mov_b32 s0, exec_lo
	v_lshrrev_b32_e32 v1, 16, v1
	v_add_nc_u32_e32 v31, s6, v1
	s_waitcnt lgkmcnt(0)
	v_cmpx_gt_u64_e64 s[12:13], v[31:32]
	s_cbranch_execz .LBB0_25
; %bb.1:
	s_clause 0x1
	s_load_dwordx4 s[0:3], s[4:5], 0x18
	s_load_dwordx2 s[12:13], s[4:5], 0x0
	v_mul_lo_u16 v1, 0xe0, v1
	v_sub_nc_u16 v9, v0, v1
	v_and_b32_e32 v85, 0xffff, v9
	v_lshlrev_b32_e32 v71, 2, v85
	s_waitcnt lgkmcnt(0)
	s_load_dwordx4 s[8:11], s[0:1], 0x0
	v_add_co_u32 v29, s0, s12, v71
	v_add_co_ci_u32_e64 v30, null, s13, 0, s0
	global_load_dword v87, v71, s[12:13]
	v_add_co_u32 v0, vcc_lo, 0x800, v29
	v_add_co_ci_u32_e32 v1, vcc_lo, 0, v30, vcc_lo
	v_add_co_u32 v27, vcc_lo, 0x1000, v29
	v_add_co_ci_u32_e32 v28, vcc_lo, 0, v30, vcc_lo
	v_add_co_u32 v25, vcc_lo, 0x1800, v29
	v_add_co_ci_u32_e32 v26, vcc_lo, 0, v30, vcc_lo
	v_add_co_u32 v23, vcc_lo, 0x2000, v29
	s_waitcnt lgkmcnt(0)
	v_mad_u64_u32 v[2:3], null, s10, v31, 0
	v_mad_u64_u32 v[4:5], null, s8, v85, 0
	v_add_co_ci_u32_e32 v24, vcc_lo, 0, v30, vcc_lo
	v_add_co_u32 v19, vcc_lo, 0x2800, v29
	v_add_co_ci_u32_e32 v20, vcc_lo, 0, v30, vcc_lo
	v_mad_u64_u32 v[6:7], null, s11, v31, v[3:4]
	v_add_co_u32 v17, vcc_lo, 0x3000, v29
	v_add_co_ci_u32_e32 v18, vcc_lo, 0, v30, vcc_lo
	v_add_co_u32 v15, vcc_lo, 0x4000, v29
	v_mad_u64_u32 v[7:8], null, s9, v85, v[5:6]
	v_mov_b32_e32 v3, v6
	v_add_co_ci_u32_e32 v16, vcc_lo, 0, v30, vcc_lo
	s_mul_i32 s1, s9, 0x24c
	s_mul_hi_u32 s6, s8, 0x24c
	v_lshlrev_b64 v[2:3], 2, v[2:3]
	v_mov_b32_e32 v5, v7
	s_mul_i32 s0, s8, 0x24c
	s_add_i32 s1, s6, s1
	s_lshl_b64 s[6:7], s[0:1], 2
	v_lshlrev_b64 v[4:5], 2, v[4:5]
	v_add_co_u32 v2, vcc_lo, s14, v2
	v_add_co_ci_u32_e32 v3, vcc_lo, s15, v3, vcc_lo
	s_mul_hi_u32 s0, s8, 0xfffff0cc
	v_add_co_u32 v2, vcc_lo, v2, v4
	v_add_co_ci_u32_e32 v3, vcc_lo, v3, v5, vcc_lo
	s_mul_i32 s1, s9, 0xfffff0cc
	v_add_co_u32 v4, vcc_lo, v2, s6
	v_add_co_ci_u32_e32 v5, vcc_lo, s7, v3, vcc_lo
	global_load_dword v6, v[2:3], off
	v_add_co_u32 v2, vcc_lo, v4, s6
	v_add_co_ci_u32_e32 v3, vcc_lo, s7, v5, vcc_lo
	s_clause 0x1
	global_load_dword v88, v[0:1], off offset:304
	global_load_dword v86, v[27:28], off offset:608
	global_load_dword v7, v[4:5], off
	global_load_dword v84, v[25:26], off offset:912
	global_load_dword v8, v[2:3], off
	v_add_co_u32 v2, vcc_lo, v2, s6
	v_add_co_ci_u32_e32 v3, vcc_lo, s7, v3, vcc_lo
	global_load_dword v83, v[23:24], off offset:1216
	v_add_co_u32 v4, vcc_lo, v2, s6
	v_add_co_ci_u32_e32 v5, vcc_lo, s7, v3, vcc_lo
	global_load_dword v10, v[2:3], off
	s_clause 0x1
	global_load_dword v82, v[19:20], off offset:1520
	global_load_dword v81, v[17:18], off offset:1824
	v_add_co_u32 v2, vcc_lo, v4, s6
	v_add_co_ci_u32_e32 v3, vcc_lo, s7, v5, vcc_lo
	global_load_dword v11, v[4:5], off
	v_add_co_u32 v4, vcc_lo, v2, s6
	v_add_co_ci_u32_e32 v5, vcc_lo, s7, v3, vcc_lo
	global_load_dword v12, v[2:3], off
	s_sub_i32 s9, s0, s8
	v_add_co_u32 v2, vcc_lo, v4, s6
	s_mul_i32 s0, s8, 0xfffff0cc
	s_add_i32 s1, s9, s1
	v_add_co_ci_u32_e32 v3, vcc_lo, s7, v5, vcc_lo
	s_lshl_b64 s[14:15], s[0:1], 2
	global_load_dword v13, v[4:5], off
	v_add_co_u32 v4, vcc_lo, v2, s14
	v_add_co_ci_u32_e32 v5, vcc_lo, s15, v3, vcc_lo
	global_load_dword v14, v[2:3], off
	s_clause 0x2
	global_load_dword v80, v[15:16], off offset:80
	global_load_dword v79, v71, s[12:13] offset:896
	global_load_dword v78, v[0:1], off offset:1200
	global_load_dword v32, v[4:5], off
	v_add_co_u32 v0, vcc_lo, v4, s6
	v_add_co_ci_u32_e32 v1, vcc_lo, s7, v5, vcc_lo
	global_load_dword v74, v[17:18], off offset:368
	v_add_co_u32 v2, vcc_lo, v0, s6
	v_add_co_ci_u32_e32 v3, vcc_lo, s7, v1, vcc_lo
	global_load_dword v4, v[0:1], off
	s_clause 0x2
	global_load_dword v75, v[19:20], off offset:64
	global_load_dword v76, v[25:26], off offset:1808
	;; [unrolled: 1-line block ×3, first 2 shown]
	global_load_dword v5, v[2:3], off
	v_add_co_u32 v0, vcc_lo, v2, s6
	v_add_co_ci_u32_e32 v1, vcc_lo, s7, v3, vcc_lo
	s_load_dwordx2 s[12:13], s[4:5], 0x38
	v_add_co_u32 v2, vcc_lo, v0, s6
	v_add_co_ci_u32_e32 v3, vcc_lo, s7, v1, vcc_lo
	global_load_dword v33, v[0:1], off
	v_add_co_u32 v0, vcc_lo, v2, s6
	v_add_co_ci_u32_e32 v1, vcc_lo, s7, v3, vcc_lo
	global_load_dword v34, v[2:3], off
	v_add_co_u32 v2, vcc_lo, v0, s6
	v_add_co_ci_u32_e32 v3, vcc_lo, s7, v1, vcc_lo
	global_load_dword v35, v[0:1], off
	v_add_co_u32 v0, vcc_lo, v2, s6
	v_add_co_ci_u32_e32 v1, vcc_lo, s7, v3, vcc_lo
	v_add_co_u32 v21, vcc_lo, 0x3800, v29
	v_add_co_ci_u32_e32 v22, vcc_lo, 0, v30, vcc_lo
	global_load_dword v2, v[2:3], off
	global_load_dword v3, v[0:1], off
	s_clause 0x1
	global_load_dword v72, v[15:16], off offset:976
	global_load_dword v73, v[21:22], off offset:672
	s_load_dwordx4 s[8:11], s[2:3], 0x0
	v_cmp_lt_u16_e64 s0, 0x8b, v9
	v_cmp_gt_u16_e32 vcc_lo, 0x8c, v9
	s_waitcnt vmcnt(30)
	v_lshrrev_b32_e32 v36, 16, v6
	v_mul_f16_sdwa v37, v87, v6 dst_sel:DWORD dst_unused:UNUSED_PAD src0_sel:WORD_1 src1_sel:DWORD
	s_waitcnt vmcnt(27)
	v_lshrrev_b32_e32 v39, 16, v7
	v_mul_f16_sdwa v40, v88, v7 dst_sel:DWORD dst_unused:UNUSED_PAD src0_sel:WORD_1 src1_sel:DWORD
	v_mul_f16_sdwa v38, v87, v36 dst_sel:DWORD dst_unused:UNUSED_PAD src0_sel:WORD_1 src1_sel:DWORD
	v_fma_f16 v36, v87, v36, -v37
	s_waitcnt vmcnt(25)
	v_lshrrev_b32_e32 v37, 16, v8
	v_fmac_f16_e32 v38, v87, v6
	v_mul_f16_sdwa v6, v88, v39 dst_sel:DWORD dst_unused:UNUSED_PAD src0_sel:WORD_1 src1_sel:DWORD
	v_fma_f16 v39, v88, v39, -v40
	v_mul_f16_sdwa v40, v86, v8 dst_sel:DWORD dst_unused:UNUSED_PAD src0_sel:WORD_1 src1_sel:DWORD
	s_waitcnt vmcnt(23)
	v_mul_f16_sdwa v41, v84, v10 dst_sel:DWORD dst_unused:UNUSED_PAD src0_sel:WORD_1 src1_sel:DWORD
	v_pack_b32_f16 v36, v38, v36
	v_fmac_f16_e32 v6, v88, v7
	v_mul_f16_sdwa v7, v86, v37 dst_sel:DWORD dst_unused:UNUSED_PAD src0_sel:WORD_1 src1_sel:DWORD
	v_lshrrev_b32_e32 v38, 16, v10
	v_fma_f16 v37, v86, v37, -v40
	s_waitcnt vmcnt(20)
	v_mul_f16_sdwa v40, v83, v11 dst_sel:DWORD dst_unused:UNUSED_PAD src0_sel:WORD_1 src1_sel:DWORD
	v_pack_b32_f16 v6, v6, v39
	v_fmac_f16_e32 v7, v86, v8
	v_mul_f16_sdwa v8, v84, v38 dst_sel:DWORD dst_unused:UNUSED_PAD src0_sel:WORD_1 src1_sel:DWORD
	v_lshrrev_b32_e32 v39, 16, v11
	v_fma_f16 v38, v84, v38, -v41
	ds_write_b32 v71, v6 offset:2352
	v_pack_b32_f16 v6, v7, v37
	v_fmac_f16_e32 v8, v84, v10
	v_mul_f16_sdwa v7, v83, v39 dst_sel:DWORD dst_unused:UNUSED_PAD src0_sel:WORD_1 src1_sel:DWORD
	v_fma_f16 v10, v83, v39, -v40
	s_waitcnt vmcnt(19)
	v_lshrrev_b32_e32 v37, 16, v12
	v_mul_f16_sdwa v39, v82, v12 dst_sel:DWORD dst_unused:UNUSED_PAD src0_sel:WORD_1 src1_sel:DWORD
	ds_write_b32 v71, v6 offset:4704
	v_pack_b32_f16 v6, v8, v38
	v_fmac_f16_e32 v7, v83, v11
	v_mul_f16_sdwa v8, v82, v37 dst_sel:DWORD dst_unused:UNUSED_PAD src0_sel:WORD_1 src1_sel:DWORD
	v_fma_f16 v11, v82, v37, -v39
	s_waitcnt vmcnt(18)
	v_lshrrev_b32_e32 v37, 16, v13
	v_mul_f16_sdwa v38, v81, v13 dst_sel:DWORD dst_unused:UNUSED_PAD src0_sel:WORD_1 src1_sel:DWORD
	ds_write_b32 v71, v6 offset:7056
	v_pack_b32_f16 v6, v7, v10
	v_fmac_f16_e32 v8, v82, v12
	v_mul_f16_sdwa v7, v81, v37 dst_sel:DWORD dst_unused:UNUSED_PAD src0_sel:WORD_1 src1_sel:DWORD
	v_fma_f16 v10, v81, v37, -v38
	s_waitcnt vmcnt(17)
	v_lshrrev_b32_e32 v12, 16, v14
	s_waitcnt vmcnt(16)
	v_mul_f16_sdwa v37, v80, v14 dst_sel:DWORD dst_unused:UNUSED_PAD src0_sel:WORD_1 src1_sel:DWORD
	ds_write_b32 v71, v6 offset:9408
	v_pack_b32_f16 v6, v8, v11
	v_fmac_f16_e32 v7, v81, v13
	v_mul_f16_sdwa v8, v80, v12 dst_sel:DWORD dst_unused:UNUSED_PAD src0_sel:WORD_1 src1_sel:DWORD
	v_fma_f16 v11, v80, v12, -v37
	s_waitcnt vmcnt(13)
	v_lshrrev_b32_e32 v12, 16, v32
	v_mul_f16_sdwa v13, v79, v32 dst_sel:DWORD dst_unused:UNUSED_PAD src0_sel:WORD_1 src1_sel:DWORD
	ds_write_b32 v71, v6 offset:11760
	v_pack_b32_f16 v6, v7, v10
	v_fmac_f16_e32 v8, v80, v14
	v_mul_f16_sdwa v7, v79, v12 dst_sel:DWORD dst_unused:UNUSED_PAD src0_sel:WORD_1 src1_sel:DWORD
	v_fma_f16 v10, v79, v12, -v13
	s_waitcnt vmcnt(11)
	v_lshrrev_b32_e32 v12, 16, v4
	;; [unrolled: 8-line block ×3, first 2 shown]
	v_mul_f16_sdwa v13, v77, v5 dst_sel:DWORD dst_unused:UNUSED_PAD src0_sel:WORD_1 src1_sel:DWORD
	ds_write_b32 v71, v6 offset:16464
	v_pack_b32_f16 v6, v7, v10
	v_fmac_f16_e32 v8, v78, v4
	v_mul_f16_sdwa v4, v77, v12 dst_sel:DWORD dst_unused:UNUSED_PAD src0_sel:WORD_1 src1_sel:DWORD
	s_waitcnt vmcnt(6)
	v_lshrrev_b32_e32 v10, 16, v33
	v_fma_f16 v7, v77, v12, -v13
	v_mul_f16_sdwa v12, v76, v33 dst_sel:DWORD dst_unused:UNUSED_PAD src0_sel:WORD_1 src1_sel:DWORD
	ds_write2_b32 v71, v36, v6 offset1:224
	v_fmac_f16_e32 v4, v77, v5
	v_mul_f16_sdwa v5, v76, v10 dst_sel:DWORD dst_unused:UNUSED_PAD src0_sel:WORD_1 src1_sel:DWORD
	v_pack_b32_f16 v6, v8, v11
	v_fma_f16 v8, v76, v10, -v12
	s_waitcnt vmcnt(5)
	v_lshrrev_b32_e32 v10, 16, v34
	v_mul_f16_sdwa v11, v75, v34 dst_sel:DWORD dst_unused:UNUSED_PAD src0_sel:WORD_1 src1_sel:DWORD
	v_pack_b32_f16 v4, v4, v7
	v_fmac_f16_e32 v5, v76, v33
	ds_write_b32 v71, v6 offset:3248
	v_mul_f16_sdwa v6, v75, v10 dst_sel:DWORD dst_unused:UNUSED_PAD src0_sel:WORD_1 src1_sel:DWORD
	v_fma_f16 v7, v75, v10, -v11
	s_waitcnt vmcnt(4)
	v_lshrrev_b32_e32 v10, 16, v35
	v_mul_f16_sdwa v11, v74, v35 dst_sel:DWORD dst_unused:UNUSED_PAD src0_sel:WORD_1 src1_sel:DWORD
	ds_write_b32 v71, v4 offset:5600
	v_pack_b32_f16 v4, v5, v8
	s_waitcnt vmcnt(3)
	v_lshrrev_b32_e32 v5, 16, v2
	s_waitcnt vmcnt(2)
	v_lshrrev_b32_e32 v12, 16, v3
	v_mul_f16_sdwa v8, v74, v10 dst_sel:DWORD dst_unused:UNUSED_PAD src0_sel:WORD_1 src1_sel:DWORD
	v_fma_f16 v10, v74, v10, -v11
	s_waitcnt vmcnt(0)
	v_mul_f16_sdwa v11, v73, v2 dst_sel:DWORD dst_unused:UNUSED_PAD src0_sel:WORD_1 src1_sel:DWORD
	v_mul_f16_sdwa v13, v73, v5 dst_sel:DWORD dst_unused:UNUSED_PAD src0_sel:WORD_1 src1_sel:DWORD
	;; [unrolled: 1-line block ×4, first 2 shown]
	v_fmac_f16_e32 v6, v75, v34
	v_fmac_f16_e32 v8, v74, v35
	v_fma_f16 v5, v73, v5, -v11
	v_fmac_f16_e32 v13, v73, v2
	v_fma_f16 v2, v72, v12, -v14
	v_fmac_f16_e32 v32, v72, v3
	v_pack_b32_f16 v3, v6, v7
	ds_write_b32 v71, v4 offset:7952
	v_pack_b32_f16 v4, v8, v10
	v_pack_b32_f16 v5, v13, v5
	;; [unrolled: 1-line block ×3, first 2 shown]
	ds_write_b32 v71, v3 offset:10304
	ds_write_b32 v71, v4 offset:12656
	;; [unrolled: 1-line block ×4, first 2 shown]
	s_and_saveexec_b32 s2, vcc_lo
	s_cbranch_execz .LBB0_3
; %bb.2:
	v_add_co_u32 v0, s1, v0, s14
	v_add_co_ci_u32_e64 v1, s1, s15, v1, s1
	v_add_co_u32 v2, s1, v0, s6
	v_add_co_ci_u32_e64 v3, s1, s7, v1, s1
	;; [unrolled: 2-line block ×3, first 2 shown]
	global_load_dword v6, v[0:1], off
	global_load_dword v7, v[29:30], off offset:1792
	global_load_dword v8, v[2:3], off
	global_load_dword v9, v[4:5], off
	v_add_co_u32 v0, s1, v4, s6
	v_add_co_ci_u32_e64 v1, s1, s7, v5, s1
	s_clause 0x1
	global_load_dword v4, v[27:28], off offset:48
	global_load_dword v5, v[25:26], off offset:352
	v_add_co_u32 v2, s1, v0, s6
	v_add_co_ci_u32_e64 v3, s1, s7, v1, s1
	global_load_dword v10, v[0:1], off
	global_load_dword v11, v[23:24], off offset:656
	global_load_dword v12, v[2:3], off
	v_add_co_u32 v0, s1, v2, s6
	v_add_co_ci_u32_e64 v1, s1, s7, v3, s1
	global_load_dword v13, v[19:20], off offset:960
	v_add_co_u32 v2, s1, v0, s6
	v_add_co_ci_u32_e64 v3, s1, s7, v1, s1
	global_load_dword v14, v[0:1], off
	v_add_co_u32 v0, s1, v2, s6
	v_add_co_ci_u32_e64 v1, s1, s7, v3, s1
	global_load_dword v32, v[17:18], off offset:1264
	global_load_dword v2, v[2:3], off
	global_load_dword v0, v[0:1], off
	s_clause 0x1
	global_load_dword v1, v[21:22], off offset:1568
	global_load_dword v3, v[15:16], off offset:1872
	s_waitcnt vmcnt(15)
	v_lshrrev_b32_e32 v33, 16, v6
	s_waitcnt vmcnt(14)
	v_mul_f16_sdwa v34, v7, v6 dst_sel:DWORD dst_unused:UNUSED_PAD src0_sel:WORD_1 src1_sel:DWORD
	s_waitcnt vmcnt(13)
	v_lshrrev_b32_e32 v36, 16, v8
	v_mul_f16_sdwa v35, v7, v33 dst_sel:DWORD dst_unused:UNUSED_PAD src0_sel:WORD_1 src1_sel:DWORD
	v_fma_f16 v33, v7, v33, -v34
	s_waitcnt vmcnt(11)
	v_mul_f16_sdwa v34, v4, v8 dst_sel:DWORD dst_unused:UNUSED_PAD src0_sel:WORD_1 src1_sel:DWORD
	s_waitcnt vmcnt(10)
	v_mul_f16_sdwa v37, v5, v9 dst_sel:DWORD dst_unused:UNUSED_PAD src0_sel:WORD_1 src1_sel:DWORD
	v_fmac_f16_e32 v35, v7, v6
	v_mul_f16_sdwa v6, v4, v36 dst_sel:DWORD dst_unused:UNUSED_PAD src0_sel:WORD_1 src1_sel:DWORD
	v_lshrrev_b32_e32 v7, 16, v9
	v_fma_f16 v34, v4, v36, -v34
	v_pack_b32_f16 v33, v35, v33
	v_fmac_f16_e32 v6, v4, v8
	v_mul_f16_sdwa v4, v5, v7 dst_sel:DWORD dst_unused:UNUSED_PAD src0_sel:WORD_1 src1_sel:DWORD
	v_fma_f16 v7, v5, v7, -v37
	s_waitcnt vmcnt(9)
	v_lshrrev_b32_e32 v8, 16, v10
	ds_write_b32 v71, v33 offset:1792
	v_pack_b32_f16 v6, v6, v34
	v_fmac_f16_e32 v4, v5, v9
	s_waitcnt vmcnt(7)
	v_lshrrev_b32_e32 v9, 16, v12
	s_waitcnt vmcnt(6)
	v_mul_f16_sdwa v33, v13, v12 dst_sel:DWORD dst_unused:UNUSED_PAD src0_sel:WORD_1 src1_sel:DWORD
	v_mul_f16_sdwa v5, v11, v8 dst_sel:DWORD dst_unused:UNUSED_PAD src0_sel:WORD_1 src1_sel:DWORD
	v_mul_f16_sdwa v35, v11, v10 dst_sel:DWORD dst_unused:UNUSED_PAD src0_sel:WORD_1 src1_sel:DWORD
	v_pack_b32_f16 v4, v4, v7
	ds_write_b32 v71, v6 offset:4144
	v_mul_f16_sdwa v6, v13, v9 dst_sel:DWORD dst_unused:UNUSED_PAD src0_sel:WORD_1 src1_sel:DWORD
	v_fma_f16 v7, v13, v9, -v33
	s_waitcnt vmcnt(5)
	v_lshrrev_b32_e32 v9, 16, v14
	v_fmac_f16_e32 v5, v11, v10
	s_waitcnt vmcnt(4)
	v_mul_f16_sdwa v10, v32, v14 dst_sel:DWORD dst_unused:UNUSED_PAD src0_sel:WORD_1 src1_sel:DWORD
	ds_write_b32 v71, v4 offset:6496
	s_waitcnt vmcnt(3)
	v_lshrrev_b32_e32 v4, 16, v2
	v_fma_f16 v8, v11, v8, -v35
	s_waitcnt vmcnt(2)
	v_lshrrev_b32_e32 v11, 16, v0
	v_fmac_f16_e32 v6, v13, v12
	v_mul_f16_sdwa v12, v32, v9 dst_sel:DWORD dst_unused:UNUSED_PAD src0_sel:WORD_1 src1_sel:DWORD
	v_fma_f16 v9, v32, v9, -v10
	s_waitcnt vmcnt(1)
	v_mul_f16_sdwa v10, v1, v2 dst_sel:DWORD dst_unused:UNUSED_PAD src0_sel:WORD_1 src1_sel:DWORD
	v_mul_f16_sdwa v13, v1, v4 dst_sel:DWORD dst_unused:UNUSED_PAD src0_sel:WORD_1 src1_sel:DWORD
	s_waitcnt vmcnt(0)
	v_mul_f16_sdwa v33, v3, v11 dst_sel:DWORD dst_unused:UNUSED_PAD src0_sel:WORD_1 src1_sel:DWORD
	v_mul_f16_sdwa v34, v3, v0 dst_sel:DWORD dst_unused:UNUSED_PAD src0_sel:WORD_1 src1_sel:DWORD
	v_fmac_f16_e32 v12, v32, v14
	v_fma_f16 v4, v1, v4, -v10
	v_fmac_f16_e32 v13, v1, v2
	v_fmac_f16_e32 v33, v3, v0
	v_fma_f16 v0, v3, v11, -v34
	v_pack_b32_f16 v1, v5, v8
	v_pack_b32_f16 v2, v6, v7
	;; [unrolled: 1-line block ×5, first 2 shown]
	ds_write_b32 v71, v1 offset:8848
	ds_write_b32 v71, v2 offset:11200
	;; [unrolled: 1-line block ×5, first 2 shown]
.LBB0_3:
	s_or_b32 exec_lo, exec_lo, s2
	v_add_nc_u32_e32 v6, 0x1b80, v71
	v_add_nc_u32_e32 v0, 0x900, v71
	;; [unrolled: 1-line block ×7, first 2 shown]
	s_waitcnt lgkmcnt(0)
	s_barrier
	buffer_gl0_inv
	ds_read2_b32 v[2:3], v71 offset1:224
	ds_read2_b32 v[0:1], v0 offset0:12 offset1:236
	ds_read2_b32 v[4:5], v4 offset0:24 offset1:248
	;; [unrolled: 1-line block ×7, first 2 shown]
                                        ; implicit-def: $vgpr36
                                        ; implicit-def: $vgpr40
                                        ; implicit-def: $vgpr14
                                        ; implicit-def: $vgpr41
                                        ; implicit-def: $vgpr34
                                        ; implicit-def: $vgpr37
                                        ; implicit-def: $vgpr35
                                        ; implicit-def: $vgpr39
	s_and_saveexec_b32 s1, vcc_lo
	s_cbranch_execz .LBB0_5
; %bb.4:
	ds_read_b32 v36, v71 offset:1792
	ds_read_b32 v34, v71 offset:4144
	;; [unrolled: 1-line block ×8, first 2 shown]
.LBB0_5:
	s_or_b32 exec_lo, exec_lo, s1
	s_waitcnt lgkmcnt(3)
	v_pk_add_f16 v42, v2, v32 neg_lo:[0,1] neg_hi:[0,1]
	s_waitcnt lgkmcnt(2)
	v_pk_add_f16 v43, v0, v8 neg_lo:[0,1] neg_hi:[0,1]
	;; [unrolled: 2-line block ×4, first 2 shown]
	v_pk_add_f16 v51, v3, v33 neg_lo:[0,1] neg_hi:[0,1]
	v_lshrrev_b32_e32 v8, 16, v42
	v_lshrrev_b32_e32 v10, 16, v43
	v_sub_f16_sdwa v12, v42, v46 dst_sel:DWORD dst_unused:UNUSED_PAD src0_sel:DWORD src1_sel:WORD_1
	v_sub_f16_sdwa v32, v43, v47 dst_sel:DWORD dst_unused:UNUSED_PAD src0_sel:DWORD src1_sel:WORD_1
	v_pk_add_f16 v55, v1, v9 neg_lo:[0,1] neg_hi:[0,1]
	v_add_f16_e32 v45, v8, v46
	v_add_f16_e32 v48, v10, v47
	v_fma_f16 v49, v42, 2.0, -v12
	v_fma_f16 v50, v43, 2.0, -v32
	v_pk_add_f16 v54, v5, v13 neg_lo:[0,1] neg_hi:[0,1]
	v_fma_f16 v8, v8, 2.0, -v45
	v_fma_f16 v10, v10, 2.0, -v48
	v_pk_add_f16 v56, v7, v11 neg_lo:[0,1] neg_hi:[0,1]
	v_fmamk_f16 v52, v50, 0xb9a8, v49
	v_lshrrev_b32_e32 v9, 16, v51
	v_sub_f16_sdwa v11, v51, v54 dst_sel:DWORD dst_unused:UNUSED_PAD src0_sel:DWORD src1_sel:WORD_1
	v_fmamk_f16 v53, v10, 0xb9a8, v8
	v_sub_f16_sdwa v13, v55, v56 dst_sel:DWORD dst_unused:UNUSED_PAD src0_sel:DWORD src1_sel:WORD_1
	v_fmac_f16_e32 v52, 0xb9a8, v10
	v_lshrrev_b32_e32 v10, 16, v55
	v_add_f16_e32 v57, v9, v54
	v_fmac_f16_e32 v53, 0x39a8, v50
	v_fmamk_f16 v50, v32, 0x39a8, v12
	v_fma_f16 v58, v51, 2.0, -v11
	v_add_f16_e32 v33, v10, v56
	v_fma_f16 v9, v9, 2.0, -v57
	v_fma_f16 v59, v55, 2.0, -v13
	v_fmamk_f16 v60, v48, 0x39a8, v45
	v_fmac_f16_e32 v50, 0xb9a8, v48
	v_fma_f16 v10, v10, 2.0, -v33
	v_fmamk_f16 v66, v33, 0x39a8, v57
	v_fmamk_f16 v61, v59, 0xb9a8, v58
	v_fmac_f16_e32 v60, 0x39a8, v32
	v_fma_f16 v64, v12, 2.0, -v50
	v_fmamk_f16 v62, v10, 0xb9a8, v9
	v_pk_add_f16 v12, v36, v40 neg_lo:[0,1] neg_hi:[0,1]
	v_pk_add_f16 v32, v14, v41 neg_lo:[0,1] neg_hi:[0,1]
	v_fma_f16 v63, v8, 2.0, -v53
	v_fmac_f16_e32 v66, 0x39a8, v13
	v_fmac_f16_e32 v62, 0x39a8, v59
	v_fmamk_f16 v59, v13, 0x39a8, v11
	v_lshrrev_b32_e32 v13, 16, v12
	v_sub_f16_sdwa v8, v12, v32 dst_sel:DWORD dst_unused:UNUSED_PAD src0_sel:DWORD src1_sel:WORD_1
	v_fmac_f16_e32 v61, 0xb9a8, v10
	v_fma_f16 v67, v9, 2.0, -v62
	v_fmac_f16_e32 v59, 0xb9a8, v33
	v_pk_add_f16 v33, v35, v39 neg_lo:[0,1] neg_hi:[0,1]
	v_add_f16_e32 v9, v32, v13
	v_fma_f16 v10, v12, 2.0, -v8
	v_pk_fma_f16 v12, v36, 2.0, v12 op_sel_hi:[1,0,1] neg_lo:[0,0,1] neg_hi:[0,0,1]
	v_fma_f16 v68, v11, 2.0, -v59
	v_pk_add_f16 v11, v34, v37 neg_lo:[0,1] neg_hi:[0,1]
	v_pk_fma_f16 v37, v14, 2.0, v32 op_sel_hi:[1,0,1] neg_lo:[0,0,1] neg_hi:[0,0,1]
	v_fma_f16 v14, v13, 2.0, -v9
	v_pk_fma_f16 v4, v4, 2.0, v46 op_sel_hi:[1,0,1] neg_lo:[0,0,1] neg_hi:[0,0,1]
	v_pk_fma_f16 v0, v0, 2.0, v43 op_sel_hi:[1,0,1] neg_lo:[0,0,1] neg_hi:[0,0,1]
	v_lshrrev_b32_e32 v36, 16, v11
	v_pk_fma_f16 v39, v34, 2.0, v11 op_sel_hi:[1,0,1] neg_lo:[0,0,1] neg_hi:[0,0,1]
	v_pk_fma_f16 v34, v35, 2.0, v33 op_sel_hi:[1,0,1] neg_lo:[0,0,1] neg_hi:[0,0,1]
	v_sub_f16_sdwa v32, v11, v33 dst_sel:DWORD dst_unused:UNUSED_PAD src0_sel:DWORD src1_sel:WORD_1
	v_pk_add_f16 v13, v12, v37 neg_lo:[0,1] neg_hi:[0,1]
	v_add_f16_e32 v33, v33, v36
	v_pk_fma_f16 v6, v6, 2.0, v47 op_sel_hi:[1,0,1] neg_lo:[0,0,1] neg_hi:[0,0,1]
	v_pk_add_f16 v37, v39, v34 neg_lo:[0,1] neg_hi:[0,1]
	v_pk_fma_f16 v3, v3, 2.0, v51 op_sel_hi:[1,0,1] neg_lo:[0,0,1] neg_hi:[0,0,1]
	v_pk_fma_f16 v5, v5, 2.0, v54 op_sel_hi:[1,0,1] neg_lo:[0,0,1] neg_hi:[0,0,1]
	v_fma_f16 v35, v36, 2.0, -v33
	v_pk_add_f16 v6, v0, v6 neg_lo:[0,1] neg_hi:[0,1]
	v_pk_fma_f16 v36, v39, 2.0, v37 op_sel_hi:[1,0,1] neg_lo:[0,0,1] neg_hi:[0,0,1]
	v_pk_fma_f16 v39, v2, 2.0, v42 op_sel_hi:[1,0,1] neg_lo:[0,0,1] neg_hi:[0,0,1]
	v_pk_add_f16 v46, v13, v37 op_sel:[0,1] op_sel_hi:[1,0] neg_lo:[0,1] neg_hi:[0,1]
	v_pk_add_f16 v2, v13, v37 op_sel:[0,1] op_sel_hi:[1,0]
	v_pk_fma_f16 v0, v0, 2.0, v6 op_sel_hi:[1,0,1] neg_lo:[0,0,1] neg_hi:[0,0,1]
	v_pk_fma_f16 v1, v1, 2.0, v55 op_sel_hi:[1,0,1] neg_lo:[0,0,1] neg_hi:[0,0,1]
	v_pk_add_f16 v37, v39, v4 neg_lo:[0,1] neg_hi:[0,1]
	v_pk_fma_f16 v7, v7, 2.0, v56 op_sel_hi:[1,0,1] neg_lo:[0,0,1] neg_hi:[0,0,1]
	v_pk_add_f16 v5, v3, v5 neg_lo:[0,1] neg_hi:[0,1]
	v_fma_f16 v49, v49, 2.0, -v52
	v_add_co_u32 v44, null, 0xe0, v85
	v_pk_fma_f16 v39, v39, 2.0, v37 op_sel_hi:[1,0,1] neg_lo:[0,0,1] neg_hi:[0,0,1]
	v_lshrrev_b32_e32 v40, 16, v37
	v_sub_f16_sdwa v43, v37, v6 dst_sel:DWORD dst_unused:UNUSED_PAD src0_sel:DWORD src1_sel:WORD_1
	v_pk_add_f16 v7, v1, v7 neg_lo:[0,1] neg_hi:[0,1]
	v_pk_fma_f16 v3, v3, 2.0, v5 op_sel_hi:[1,0,1] neg_lo:[0,0,1] neg_hi:[0,0,1]
	v_pk_add_f16 v4, v39, v0 neg_lo:[0,1] neg_hi:[0,1]
	v_add_f16_e32 v0, v40, v6
	v_fma_f16 v6, v37, 2.0, -v43
	v_pk_fma_f16 v1, v1, 2.0, v7 op_sel_hi:[1,0,1] neg_lo:[0,0,1] neg_hi:[0,0,1]
	v_fma_f16 v65, v45, 2.0, -v60
	v_fma_f16 v34, v11, 2.0, -v32
	;; [unrolled: 1-line block ×3, first 2 shown]
	v_pack_b32_f16 v40, v49, v63
	v_sub_f16_sdwa v49, v5, v7 dst_sel:DWORD dst_unused:UNUSED_PAD src0_sel:DWORD src1_sel:WORD_1
	v_fma_f16 v58, v58, 2.0, -v61
	v_fma_f16 v57, v57, 2.0, -v66
	v_pack_b32_f16 v41, v6, v37
	v_lshrrev_b32_e32 v37, 16, v5
	v_pack_b32_f16 v6, v43, v0
	v_fma_f16 v0, v5, 2.0, -v49
	v_add_co_u32 v38, null, 0x1c0, v85
	v_add_f16_e32 v51, v37, v7
	v_pack_b32_f16 v7, v50, v60
	v_pk_add_f16 v50, v3, v1 neg_lo:[0,1] neg_hi:[0,1]
	v_pk_fma_f16 v12, v12, 2.0, v13 op_sel_hi:[1,0,1] neg_lo:[0,0,1] neg_hi:[0,0,1]
	v_fmamk_f16 v11, v34, 0xb9a8, v10
	v_fma_f16 v1, v37, 2.0, -v51
	v_fmamk_f16 v45, v35, 0xb9a8, v14
	v_fmamk_f16 v47, v32, 0x39a8, v8
	;; [unrolled: 1-line block ×3, first 2 shown]
	v_lshlrev_b32_e32 v90, 5, v85
	v_pk_fma_f16 v39, v39, 2.0, v4 op_sel_hi:[1,0,1] neg_lo:[0,0,1] neg_hi:[0,0,1]
	v_pack_b32_f16 v42, v64, v65
	v_pack_b32_f16 v5, v52, v53
	v_lshlrev_b32_e32 v91, 5, v44
	v_pack_b32_f16 v52, v49, v51
	v_lshrrev_b32_e32 v49, 16, v2
	v_pk_fma_f16 v54, v3, 2.0, v50 op_sel_hi:[1,0,1] neg_lo:[0,0,1] neg_hi:[0,0,1]
	v_pack_b32_f16 v57, v68, v57
	v_pack_b32_f16 v56, v0, v1
	;; [unrolled: 1-line block ×5, first 2 shown]
	s_barrier
	buffer_gl0_inv
	ds_write_b128 v90, v[39:42]
	ds_write_b128 v90, v[4:7] offset:16
	ds_write_b128 v91, v[54:57]
	ds_write_b128 v91, v[50:53] offset:16
	s_and_saveexec_b32 s1, s0
	s_xor_b32 s0, exec_lo, s1
; %bb.6:
                                        ; implicit-def: $vgpr8
                                        ; implicit-def: $vgpr9
                                        ; implicit-def: $vgpr10
                                        ; implicit-def: $vgpr14
                                        ; implicit-def: $vgpr13
                                        ; implicit-def: $vgpr2
; %bb.7:
	s_or_saveexec_b32 s0, s0
	v_pk_add_f16 v0, v12, v36 neg_lo:[0,1] neg_hi:[0,1]
	v_fmac_f16_e32 v11, 0xb9a8, v35
	v_fmac_f16_e32 v45, 0x39a8, v34
	v_fmac_f16_e32 v47, 0xb9a8, v33
	v_fmac_f16_e32 v48, 0x39a8, v32
	s_xor_b32 exec_lo, exec_lo, s0
	s_cbranch_execz .LBB0_9
; %bb.8:
	v_bfi_b32 v2, 0xffff, v46, v2
	v_fma_f16 v1, v8, 2.0, -v47
	v_fma_f16 v3, v9, 2.0, -v48
	;; [unrolled: 1-line block ×4, first 2 shown]
	v_lshlrev_b32_e32 v9, 5, v38
	v_pk_fma_f16 v4, v12, 2.0, v0 op_sel_hi:[1,0,1] neg_lo:[0,0,1] neg_hi:[0,0,1]
	v_pk_fma_f16 v6, v13, 2.0, v2 op_sel_hi:[1,0,1] neg_lo:[0,0,1] neg_hi:[0,0,1]
	v_pack_b32_f16 v7, v1, v3
	v_pack_b32_f16 v5, v5, v8
	v_perm_b32 v3, v48, v47, 0x5040100
	v_perm_b32 v1, v45, v11, 0x5040100
	ds_write_b128 v9, v[4:7]
	ds_write_b128 v9, v[0:3] offset:16
.LBB0_9:
	s_or_b32 exec_lo, exec_lo, s0
	v_add_nc_u32_e32 v3, 0x1200, v71
	v_add_nc_u32_e32 v4, 0x2480, v71
	s_waitcnt lgkmcnt(0)
	s_barrier
	buffer_gl0_inv
	ds_read2_b32 v[1:2], v71 offset1:224
	ds_read2_b32 v[7:8], v3 offset0:24 offset1:248
	ds_read2_b32 v[5:6], v4 offset0:16 offset1:240
	v_add_nc_u32_e32 v3, 0x3700, v71
	v_add_nc_u32_e32 v4, 0x700, v71
	;; [unrolled: 1-line block ×5, first 2 shown]
	ds_read2_b32 v[36:37], v3 offset0:8 offset1:232
	ds_read2_b32 v[3:4], v4 offset1:224
	ds_read2_b32 v[34:35], v9 offset0:24 offset1:248
	ds_read2_b32 v[32:33], v10 offset0:16 offset1:240
	;; [unrolled: 1-line block ×3, first 2 shown]
	ds_read_b32 v50, v71 offset:3584
	ds_read_b32 v53, v71 offset:8288
	;; [unrolled: 1-line block ×4, first 2 shown]
	s_load_dwordx2 s[2:3], s[4:5], 0x8
	v_lshlrev_b32_e32 v40, 3, v85
	v_lshlrev_b32_e32 v39, 3, v44
	v_cmp_gt_u16_e64 s0, 56, v85
	s_and_saveexec_b32 s1, s0
	s_cbranch_execz .LBB0_11
; %bb.10:
	ds_read_b32 v11, v71 offset:9184
	ds_read_b32 v46, v71 offset:13888
	;; [unrolled: 1-line block ×4, first 2 shown]
	s_waitcnt lgkmcnt(0)
	v_lshrrev_b32_e32 v45, 16, v11
	v_lshrrev_b32_e32 v49, 16, v46
	;; [unrolled: 1-line block ×3, first 2 shown]
.LBB0_11:
	s_or_b32 exec_lo, exec_lo, s1
	v_and_b32_e32 v89, 7, v85
	v_add_co_u32 v42, null, 0x2a0, v85
	v_add_co_u32 v41, null, 0x380, v85
	s_waitcnt lgkmcnt(0)
	v_mad_u64_u32 v[12:13], null, v89, 12, s[2:3]
	v_lshlrev_b32_e32 v92, 2, v44
	v_and_or_b32 v94, 0x3e0, v71, v89
	v_lshlrev_b32_e32 v102, 2, v42
	v_lshlrev_b32_e32 v103, 2, v41
	v_lshrrev_b32_e32 v55, 16, v7
	v_lshrrev_b32_e32 v56, 16, v5
	global_load_dwordx3 v[12:14], v[12:13], off
	v_lshrrev_b32_e32 v57, 16, v36
	v_and_or_b32 v95, 0x7e0, v92, v89
	v_lshlrev_b32_e32 v97, 2, v94
	v_and_or_b32 v94, 0xfe0, v102, v89
	v_and_or_b32 v102, 0x1fe0, v103, v89
	v_lshrrev_b32_e32 v59, 16, v8
	v_lshrrev_b32_e32 v60, 16, v6
	;; [unrolled: 1-line block ×12, first 2 shown]
	v_lshlrev_b32_e32 v96, 2, v95
	v_lshlrev_b32_e32 v95, 2, v94
	;; [unrolled: 1-line block ×3, first 2 shown]
	v_lshrrev_b32_e32 v54, 16, v1
	v_lshrrev_b32_e32 v58, 16, v2
	v_lshrrev_b32_e32 v62, 16, v3
	v_lshrrev_b32_e32 v66, 16, v4
	v_lshrrev_b32_e32 v70, 16, v50
	v_lshrrev_b32_e32 v101, 16, v0
	v_lshlrev_b32_e32 v93, 2, v38
	v_add_co_u32 v43, null, 0x460, v85
	s_waitcnt vmcnt(0)
	s_barrier
	v_and_or_b32 v93, 0xfe0, v93, v89
	v_lshlrev_b32_e32 v92, 2, v43
	buffer_gl0_inv
	v_lshlrev_b32_e32 v93, 2, v93
	v_mul_f16_sdwa v102, v55, v12 dst_sel:DWORD dst_unused:UNUSED_PAD src0_sel:DWORD src1_sel:WORD_1
	v_mul_f16_sdwa v103, v7, v12 dst_sel:DWORD dst_unused:UNUSED_PAD src0_sel:DWORD src1_sel:WORD_1
	v_mul_f16_sdwa v104, v56, v13 dst_sel:DWORD dst_unused:UNUSED_PAD src0_sel:DWORD src1_sel:WORD_1
	v_mul_f16_sdwa v105, v5, v13 dst_sel:DWORD dst_unused:UNUSED_PAD src0_sel:DWORD src1_sel:WORD_1
	v_mul_f16_sdwa v106, v57, v14 dst_sel:DWORD dst_unused:UNUSED_PAD src0_sel:DWORD src1_sel:WORD_1
	v_mul_f16_sdwa v107, v36, v14 dst_sel:DWORD dst_unused:UNUSED_PAD src0_sel:DWORD src1_sel:WORD_1
	v_mul_f16_sdwa v108, v59, v12 dst_sel:DWORD dst_unused:UNUSED_PAD src0_sel:DWORD src1_sel:WORD_1
	v_mul_f16_sdwa v109, v8, v12 dst_sel:DWORD dst_unused:UNUSED_PAD src0_sel:DWORD src1_sel:WORD_1
	v_mul_f16_sdwa v110, v60, v13 dst_sel:DWORD dst_unused:UNUSED_PAD src0_sel:DWORD src1_sel:WORD_1
	v_mul_f16_sdwa v111, v6, v13 dst_sel:DWORD dst_unused:UNUSED_PAD src0_sel:DWORD src1_sel:WORD_1
	v_mul_f16_sdwa v112, v61, v14 dst_sel:DWORD dst_unused:UNUSED_PAD src0_sel:DWORD src1_sel:WORD_1
	v_mul_f16_sdwa v113, v37, v14 dst_sel:DWORD dst_unused:UNUSED_PAD src0_sel:DWORD src1_sel:WORD_1
	v_mul_f16_sdwa v114, v63, v12 dst_sel:DWORD dst_unused:UNUSED_PAD src0_sel:DWORD src1_sel:WORD_1
	v_mul_f16_sdwa v115, v34, v12 dst_sel:DWORD dst_unused:UNUSED_PAD src0_sel:DWORD src1_sel:WORD_1
	v_mul_f16_sdwa v116, v64, v13 dst_sel:DWORD dst_unused:UNUSED_PAD src0_sel:DWORD src1_sel:WORD_1
	v_mul_f16_sdwa v117, v32, v13 dst_sel:DWORD dst_unused:UNUSED_PAD src0_sel:DWORD src1_sel:WORD_1
	v_mul_f16_sdwa v118, v65, v14 dst_sel:DWORD dst_unused:UNUSED_PAD src0_sel:DWORD src1_sel:WORD_1
	v_mul_f16_sdwa v119, v9, v14 dst_sel:DWORD dst_unused:UNUSED_PAD src0_sel:DWORD src1_sel:WORD_1
	v_mul_f16_sdwa v120, v67, v12 dst_sel:DWORD dst_unused:UNUSED_PAD src0_sel:DWORD src1_sel:WORD_1
	v_mul_f16_sdwa v121, v35, v12 dst_sel:DWORD dst_unused:UNUSED_PAD src0_sel:DWORD src1_sel:WORD_1
	v_mul_f16_sdwa v122, v68, v13 dst_sel:DWORD dst_unused:UNUSED_PAD src0_sel:DWORD src1_sel:WORD_1
	v_mul_f16_sdwa v123, v33, v13 dst_sel:DWORD dst_unused:UNUSED_PAD src0_sel:DWORD src1_sel:WORD_1
	v_mul_f16_sdwa v124, v69, v14 dst_sel:DWORD dst_unused:UNUSED_PAD src0_sel:DWORD src1_sel:WORD_1
	v_mul_f16_sdwa v125, v10, v14 dst_sel:DWORD dst_unused:UNUSED_PAD src0_sel:DWORD src1_sel:WORD_1
	v_mul_f16_sdwa v126, v98, v12 dst_sel:DWORD dst_unused:UNUSED_PAD src0_sel:DWORD src1_sel:WORD_1
	v_mul_f16_sdwa v127, v53, v12 dst_sel:DWORD dst_unused:UNUSED_PAD src0_sel:DWORD src1_sel:WORD_1
	v_mul_f16_sdwa v128, v99, v13 dst_sel:DWORD dst_unused:UNUSED_PAD src0_sel:DWORD src1_sel:WORD_1
	v_mul_f16_sdwa v129, v52, v13 dst_sel:DWORD dst_unused:UNUSED_PAD src0_sel:DWORD src1_sel:WORD_1
	v_mul_f16_sdwa v130, v100, v14 dst_sel:DWORD dst_unused:UNUSED_PAD src0_sel:DWORD src1_sel:WORD_1
	v_mul_f16_sdwa v131, v51, v14 dst_sel:DWORD dst_unused:UNUSED_PAD src0_sel:DWORD src1_sel:WORD_1
	v_mul_f16_sdwa v132, v45, v12 dst_sel:DWORD dst_unused:UNUSED_PAD src0_sel:DWORD src1_sel:WORD_1
	v_mul_f16_sdwa v133, v11, v12 dst_sel:DWORD dst_unused:UNUSED_PAD src0_sel:DWORD src1_sel:WORD_1
	v_mul_f16_sdwa v134, v49, v13 dst_sel:DWORD dst_unused:UNUSED_PAD src0_sel:DWORD src1_sel:WORD_1
	v_mul_f16_sdwa v135, v46, v13 dst_sel:DWORD dst_unused:UNUSED_PAD src0_sel:DWORD src1_sel:WORD_1
	v_mul_f16_sdwa v136, v48, v14 dst_sel:DWORD dst_unused:UNUSED_PAD src0_sel:DWORD src1_sel:WORD_1
	v_mul_f16_sdwa v137, v47, v14 dst_sel:DWORD dst_unused:UNUSED_PAD src0_sel:DWORD src1_sel:WORD_1
	v_fma_f16 v7, v7, v12, -v102
	v_fma_f16 v5, v5, v13, -v104
	;; [unrolled: 1-line block ×3, first 2 shown]
	v_fmac_f16_e32 v103, v55, v12
	v_fmac_f16_e32 v105, v56, v13
	;; [unrolled: 1-line block ×3, first 2 shown]
	v_fma_f16 v8, v8, v12, -v108
	v_fma_f16 v6, v6, v13, -v110
	;; [unrolled: 1-line block ×3, first 2 shown]
	v_fmac_f16_e32 v109, v59, v12
	v_fmac_f16_e32 v111, v60, v13
	;; [unrolled: 1-line block ×3, first 2 shown]
	v_fma_f16 v34, v34, v12, -v114
	v_fmac_f16_e32 v115, v63, v12
	v_fma_f16 v32, v32, v13, -v116
	v_fmac_f16_e32 v117, v64, v13
	;; [unrolled: 2-line block ×12, first 2 shown]
	v_sub_f16_e32 v5, v1, v5
	v_sub_f16_e32 v47, v54, v105
	;; [unrolled: 1-line block ×24, first 2 shown]
	v_fma_f16 v67, v1, 2.0, -v5
	v_fma_f16 v54, v54, 2.0, -v47
	;; [unrolled: 1-line block ×12, first 2 shown]
	v_sub_f16_e32 v48, v5, v48
	v_add_f16_e32 v36, v47, v36
	v_fma_f16 v4, v4, 2.0, -v33
	v_fma_f16 v66, v66, 2.0, -v59
	;; [unrolled: 1-line block ×10, first 2 shown]
	v_sub_f16_e32 v102, v45, v65
	v_add_f16_e32 v103, v64, v46
	v_sub_f16_e32 v7, v67, v7
	v_sub_f16_e32 v46, v54, v68
	;; [unrolled: 1-line block ×3, first 2 shown]
	v_add_f16_e32 v37, v49, v37
	v_sub_f16_e32 v63, v52, v63
	v_add_f16_e32 v51, v61, v51
	v_fma_f16 v0, v101, 2.0, -v64
	v_fma_f16 v101, v133, 2.0, -v65
	v_sub_f16_e32 v8, v2, v8
	v_sub_f16_e32 v65, v58, v69
	;; [unrolled: 1-line block ×3, first 2 shown]
	v_add_f16_e32 v9, v56, v9
	v_sub_f16_e32 v34, v3, v34
	v_sub_f16_e32 v68, v62, v98
	;; [unrolled: 1-line block ×3, first 2 shown]
	v_add_f16_e32 v10, v59, v10
	v_fma_f16 v5, v5, 2.0, -v48
	v_fma_f16 v47, v47, 2.0, -v36
	v_sub_f16_e32 v35, v4, v35
	v_sub_f16_e32 v69, v66, v99
	;; [unrolled: 1-line block ×5, first 2 shown]
	v_fma_f16 v104, v45, 2.0, -v102
	v_pack_b32_f16 v11, v48, v36
	v_fma_f16 v45, v67, 2.0, -v7
	v_fma_f16 v48, v54, 2.0, -v46
	;; [unrolled: 1-line block ×5, first 2 shown]
	v_pack_b32_f16 v36, v55, v37
	v_pack_b32_f16 v37, v63, v51
	v_fma_f16 v2, v2, 2.0, -v8
	v_fma_f16 v51, v58, 2.0, -v65
	;; [unrolled: 1-line block ×9, first 2 shown]
	v_sub_f16_e32 v107, v0, v101
	v_fma_f16 v106, v64, 2.0, -v103
	v_pack_b32_f16 v9, v57, v9
	v_fma_f16 v4, v4, 2.0, -v35
	v_fma_f16 v55, v66, 2.0, -v69
	;; [unrolled: 1-line block ×4, first 2 shown]
	v_pack_b32_f16 v5, v5, v47
	v_pack_b32_f16 v7, v7, v46
	;; [unrolled: 1-line block ×14, first 2 shown]
	ds_write2_b32 v97, v7, v11 offset0:16 offset1:24
	v_pack_b32_f16 v4, v4, v55
	v_pack_b32_f16 v7, v50, v57
	ds_write2_b32 v97, v45, v5 offset1:8
	ds_write2_b32 v96, v2, v6 offset1:8
	ds_write2_b32 v96, v8, v36 offset0:16 offset1:24
	ds_write2_b32 v93, v3, v32 offset1:8
	ds_write2_b32 v93, v34, v9 offset0:16 offset1:24
	;; [unrolled: 2-line block ×4, first 2 shown]
	s_and_saveexec_b32 s1, s0
	s_cbranch_execz .LBB0_13
; %bb.12:
	v_fma_f16 v1, v1, 2.0, -v105
	v_and_or_b32 v2, 0x13e0, v92, v89
	v_fma_f16 v0, v0, 2.0, -v107
	v_perm_b32 v3, v106, v104, 0x5040100
	v_perm_b32 v4, v103, v102, 0x5040100
	v_lshlrev_b32_e32 v2, 2, v2
	v_pack_b32_f16 v0, v1, v0
	v_perm_b32 v1, v107, v105, 0x5040100
	ds_write2_b32 v2, v0, v3 offset1:8
	ds_write2_b32 v2, v1, v4 offset0:16 offset1:24
.LBB0_13:
	s_or_b32 exec_lo, exec_lo, s1
	v_and_b32_e32 v4, 31, v85
	s_waitcnt lgkmcnt(0)
	s_barrier
	buffer_gl0_inv
	v_add_nc_u32_e32 v57, 0x700, v71
	v_mad_u64_u32 v[5:6], null, v4, 24, s[2:3]
	v_add_nc_u32_e32 v52, 0x1500, v71
	v_add_nc_u32_e32 v60, 0x1c00, v71
	v_lshrrev_b32_e32 v50, 5, v85
	v_lshrrev_b32_e32 v51, 5, v44
	v_add_nc_u32_e32 v56, 0x2a00, v71
	v_add_nc_u32_e32 v62, 0x3800, v71
	s_clause 0x1
	global_load_dwordx4 v[0:3], v[5:6], off offset:96
	global_load_dwordx2 v[32:33], v[5:6], off offset:112
	v_add_nc_u32_e32 v53, 0x3100, v71
	v_add_nc_u32_e32 v58, 0x3f00, v71
	v_add_nc_u32_e32 v59, 0xe00, v71
	v_add_nc_u32_e32 v61, 0x2300, v71
	ds_read_b32 v11, v71 offset:17920
	ds_read2_b32 v[5:6], v57 offset1:224
	ds_read2_b32 v[7:8], v52 offset1:224
	;; [unrolled: 1-line block ×8, first 2 shown]
	v_mul_u32_u24_e32 v64, 0xe0, v50
	v_mul_u32_u24_e32 v65, 0xe0, v51
	ds_read2_b32 v[50:51], v71 offset1:224
	ds_read2_b32 v[54:55], v62 offset1:224
	s_waitcnt vmcnt(0) lgkmcnt(0)
	s_barrier
	v_or_b32_e32 v64, v64, v4
	v_or_b32_e32 v65, v65, v4
	buffer_gl0_inv
	v_lshrrev_b32_e32 v63, 5, v38
	v_lshlrev_b32_e32 v42, 3, v42
	v_lshlrev_b32_e32 v99, 2, v64
	;; [unrolled: 1-line block ×3, first 2 shown]
	v_lshrrev_b32_e32 v65, 16, v6
	v_lshrrev_b32_e32 v66, 16, v7
	v_lshrrev_b32_e32 v67, 16, v10
	v_lshrrev_b32_e32 v68, 16, v34
	v_lshrrev_b32_e32 v69, 16, v37
	v_lshrrev_b32_e32 v70, 16, v44
	v_lshrrev_b32_e32 v100, 16, v46
	v_lshrrev_b32_e32 v101, 16, v8
	v_lshrrev_b32_e32 v111, 16, v45
	v_lshrrev_b32_e32 v64, 16, v11
	v_lshrrev_b32_e32 v110, 16, v54
	v_lshrrev_b32_e32 v108, 16, v48
	v_lshrrev_b32_e32 v109, 16, v35
	v_lshrrev_b32_e32 v112, 16, v47
	v_lshrrev_b32_e32 v113, 16, v9
	v_lshrrev_b32_e32 v114, 16, v49
	v_lshrrev_b32_e32 v115, 16, v36
	v_lshrrev_b32_e32 v116, 16, v55
	v_mul_u32_u24_e32 v63, 0xe0, v63
	v_or_b32_e32 v4, v63, v4
	v_mul_f16_sdwa v117, v65, v0 dst_sel:DWORD dst_unused:UNUSED_PAD src0_sel:DWORD src1_sel:WORD_1
	v_mul_f16_sdwa v118, v6, v0 dst_sel:DWORD dst_unused:UNUSED_PAD src0_sel:DWORD src1_sel:WORD_1
	;; [unrolled: 1-line block ×36, first 2 shown]
	v_fma_f16 v6, v6, v0, -v117
	v_fmac_f16_e32 v118, v65, v0
	v_fma_f16 v7, v7, v1, -v119
	v_fmac_f16_e32 v120, v66, v1
	v_fma_f16 v37, v37, v32, -v125
	v_fmac_f16_e32 v126, v69, v32
	v_fma_f16 v44, v44, v33, -v127
	v_fmac_f16_e32 v128, v70, v33
	v_fma_f16 v10, v10, v2, -v121
	v_fmac_f16_e32 v122, v67, v2
	v_fma_f16 v34, v34, v3, -v123
	v_fmac_f16_e32 v124, v68, v3
	v_fma_f16 v46, v46, v0, -v129
	v_fmac_f16_e32 v130, v100, v0
	v_fma_f16 v8, v8, v1, -v131
	v_fmac_f16_e32 v132, v101, v1
	v_fma_f16 v54, v54, v32, -v137
	v_fmac_f16_e32 v138, v110, v32
	v_fma_f16 v45, v45, v33, -v139
	v_fmac_f16_e32 v140, v111, v33
	v_fma_f16 v48, v48, v2, -v133
	v_fmac_f16_e32 v134, v108, v2
	v_fma_f16 v35, v35, v3, -v135
	v_fmac_f16_e32 v136, v109, v3
	v_fma_f16 v47, v47, v0, -v141
	v_fmac_f16_e32 v142, v112, v0
	v_fma_f16 v9, v9, v1, -v143
	v_fmac_f16_e32 v144, v113, v1
	v_fma_f16 v49, v49, v2, -v145
	v_fmac_f16_e32 v146, v114, v2
	v_fma_f16 v36, v36, v3, -v147
	v_fmac_f16_e32 v148, v115, v3
	v_fma_f16 v55, v55, v32, -v149
	v_fmac_f16_e32 v150, v116, v32
	v_fma_f16 v11, v11, v33, -v151
	v_fmac_f16_e32 v152, v64, v33
	v_add_f16_e32 v64, v6, v44
	v_add_f16_e32 v65, v118, v128
	;; [unrolled: 1-line block ×4, first 2 shown]
	v_sub_f16_e32 v6, v6, v44
	v_sub_f16_e32 v44, v118, v128
	;; [unrolled: 1-line block ×4, first 2 shown]
	v_add_f16_e32 v68, v10, v34
	v_add_f16_e32 v69, v122, v124
	v_sub_f16_e32 v10, v34, v10
	v_sub_f16_e32 v34, v124, v122
	v_add_f16_e32 v70, v46, v45
	v_add_f16_e32 v100, v130, v140
	v_add_f16_e32 v101, v8, v54
	v_add_f16_e32 v108, v132, v138
	v_sub_f16_e32 v45, v46, v45
	v_sub_f16_e32 v46, v130, v140
	;; [unrolled: 1-line block ×4, first 2 shown]
	v_add_f16_e32 v109, v48, v35
	v_add_f16_e32 v110, v134, v136
	v_sub_f16_e32 v35, v35, v48
	v_sub_f16_e32 v48, v136, v134
	v_add_f16_e32 v111, v47, v11
	v_add_f16_e32 v112, v142, v152
	v_sub_f16_e32 v11, v47, v11
	v_sub_f16_e32 v47, v142, v152
	;; [unrolled: 4-line block ×3, first 2 shown]
	v_add_f16_e32 v115, v49, v36
	v_sub_f16_e32 v36, v36, v49
	v_sub_f16_e32 v49, v148, v146
	v_add_f16_e32 v117, v66, v64
	v_add_f16_e32 v118, v67, v65
	v_sub_f16_e32 v119, v66, v64
	v_sub_f16_e32 v120, v67, v65
	;; [unrolled: 1-line block ×6, first 2 shown]
	v_add_f16_e32 v121, v10, v7
	v_add_f16_e32 v122, v34, v37
	v_sub_f16_e32 v123, v10, v7
	v_sub_f16_e32 v124, v34, v37
	;; [unrolled: 1-line block ×4, first 2 shown]
	v_add_f16_e32 v125, v101, v70
	v_add_f16_e32 v126, v108, v100
	;; [unrolled: 1-line block ×3, first 2 shown]
	v_sub_f16_e32 v127, v101, v70
	v_sub_f16_e32 v128, v108, v100
	;; [unrolled: 1-line block ×4, first 2 shown]
	v_add_f16_e32 v129, v35, v8
	v_add_f16_e32 v130, v48, v54
	v_sub_f16_e32 v131, v35, v8
	v_sub_f16_e32 v132, v48, v54
	;; [unrolled: 1-line block ×4, first 2 shown]
	v_add_f16_e32 v133, v113, v111
	v_add_f16_e32 v134, v114, v112
	;; [unrolled: 1-line block ×4, first 2 shown]
	v_sub_f16_e32 v139, v36, v9
	v_sub_f16_e32 v140, v49, v55
	;; [unrolled: 1-line block ×4, first 2 shown]
	v_add_f16_e32 v68, v68, v117
	v_add_f16_e32 v69, v69, v118
	v_sub_f16_e32 v10, v6, v10
	v_sub_f16_e32 v34, v44, v34
	;; [unrolled: 1-line block ×4, first 2 shown]
	v_add_f16_e32 v6, v121, v6
	v_add_f16_e32 v44, v122, v44
	v_mul_f16_e32 v64, 0x3a52, v64
	v_mul_f16_e32 v65, 0x3a52, v65
	;; [unrolled: 1-line block ×8, first 2 shown]
	v_add_f16_e32 v109, v109, v125
	v_add_f16_e32 v110, v110, v126
	v_sub_f16_e32 v35, v45, v35
	v_sub_f16_e32 v48, v46, v48
	;; [unrolled: 1-line block ×10, first 2 shown]
	v_add_f16_e32 v45, v129, v45
	v_add_f16_e32 v46, v130, v46
	v_mul_f16_e32 v125, 0x2b26, v101
	v_mul_f16_e32 v126, 0x2b26, v108
	v_mul_f16_e32 v129, 0xb846, v131
	v_mul_f16_e32 v130, 0xb846, v132
	v_mul_f16_e32 v131, 0x3b00, v8
	v_mul_f16_e32 v132, 0x3b00, v54
	v_add_f16_e32 v115, v115, v133
	v_add_f16_e32 v116, v116, v134
	v_add_f16_e32 v11, v137, v11
	v_add_f16_e32 v47, v138, v47
	v_mul_f16_e32 v137, 0xb846, v139
	v_mul_f16_e32 v138, 0xb846, v140
	;; [unrolled: 1-line block ×4, first 2 shown]
	v_add_f16_e32 v141, v50, v68
	v_add_f16_sdwa v50, v50, v69 dst_sel:DWORD dst_unused:UNUSED_PAD src0_sel:WORD_1 src1_sel:DWORD
	v_mul_f16_e32 v70, 0x3a52, v70
	v_mul_f16_e32 v100, 0x3a52, v100
	v_fmamk_f16 v66, v66, 0x2b26, v64
	v_fmamk_f16 v67, v67, 0x2b26, v65
	v_fma_f16 v117, v119, 0x39e0, -v117
	v_fma_f16 v118, v120, 0x39e0, -v118
	;; [unrolled: 1-line block ×4, first 2 shown]
	v_fmamk_f16 v119, v10, 0x3574, v121
	v_fmamk_f16 v120, v34, 0x3574, v122
	v_fma_f16 v7, v7, 0x3b00, -v121
	v_fma_f16 v37, v37, 0x3b00, -v122
	;; [unrolled: 1-line block ×4, first 2 shown]
	v_add_f16_e32 v121, v51, v109
	v_add_f16_sdwa v51, v51, v110 dst_sel:DWORD dst_unused:UNUSED_PAD src0_sel:WORD_1 src1_sel:DWORD
	v_mul_f16_e32 v111, 0x3a52, v111
	v_mul_f16_e32 v112, 0x3a52, v112
	;; [unrolled: 1-line block ×4, first 2 shown]
	v_fma_f16 v122, v127, 0x39e0, -v125
	v_fma_f16 v123, v128, 0x39e0, -v126
	v_fmamk_f16 v124, v35, 0x3574, v129
	v_fmamk_f16 v125, v48, 0x3574, v130
	v_fma_f16 v8, v8, 0x3b00, -v129
	v_fma_f16 v54, v54, 0x3b00, -v130
	;; [unrolled: 1-line block ×4, first 2 shown]
	v_add_f16_e32 v126, v5, v115
	v_add_f16_sdwa v5, v5, v116 dst_sel:DWORD dst_unused:UNUSED_PAD src0_sel:WORD_1 src1_sel:DWORD
	v_fmamk_f16 v129, v36, 0x3574, v137
	v_fmamk_f16 v130, v49, 0x3574, v138
	v_fma_f16 v9, v9, 0x3b00, -v137
	v_fma_f16 v55, v55, 0x3b00, -v138
	;; [unrolled: 1-line block ×4, first 2 shown]
	v_fmamk_f16 v68, v68, 0xbcab, v141
	v_fmamk_f16 v69, v69, 0xbcab, v50
	;; [unrolled: 1-line block ×4, first 2 shown]
	v_fmac_f16_e32 v119, 0x370e, v6
	v_fmac_f16_e32 v120, 0x370e, v44
	;; [unrolled: 1-line block ×6, first 2 shown]
	v_fmamk_f16 v6, v109, 0xbcab, v121
	v_fmamk_f16 v44, v110, 0xbcab, v51
	v_fma_f16 v70, v127, 0xb9e0, -v70
	v_fma_f16 v100, v128, 0xb9e0, -v100
	v_fmamk_f16 v113, v113, 0x2b26, v111
	v_fmamk_f16 v114, v114, 0x2b26, v112
	v_fma_f16 v127, v135, 0x39e0, -v133
	v_fma_f16 v128, v136, 0x39e0, -v134
	;; [unrolled: 1-line block ×4, first 2 shown]
	v_fmac_f16_e32 v124, 0x370e, v45
	v_fmac_f16_e32 v125, 0x370e, v46
	;; [unrolled: 1-line block ×6, first 2 shown]
	v_fmamk_f16 v45, v115, 0xbcab, v126
	v_fmamk_f16 v46, v116, 0xbcab, v5
	v_fmac_f16_e32 v129, 0x370e, v11
	v_fmac_f16_e32 v130, 0x370e, v47
	;; [unrolled: 1-line block ×6, first 2 shown]
	v_pack_b32_f16 v11, v141, v50
	v_pack_b32_f16 v47, v121, v51
	v_add_f16_e32 v50, v66, v68
	v_add_f16_e32 v51, v67, v69
	;; [unrolled: 1-line block ×19, first 2 shown]
	v_sub_f16_e32 v112, v51, v119
	v_add_f16_e32 v113, v34, v64
	v_sub_f16_e32 v114, v65, v10
	v_sub_f16_e32 v115, v66, v37
	v_add_f16_e32 v116, v7, v67
	v_add_f16_e32 v37, v37, v66
	v_sub_f16_e32 v7, v67, v7
	v_sub_f16_e32 v34, v64, v34
	v_add_f16_e32 v10, v10, v65
	v_sub_f16_e32 v50, v50, v120
	v_add_f16_e32 v51, v119, v51
	v_add_f16_e32 v64, v125, v68
	v_sub_f16_e32 v65, v69, v124
	v_add_f16_e32 v66, v48, v6
	v_sub_f16_e32 v67, v44, v35
	v_sub_f16_e32 v117, v101, v54
	v_add_f16_e32 v118, v8, v108
	v_add_f16_e32 v54, v54, v101
	v_sub_f16_e32 v8, v108, v8
	v_sub_f16_e32 v6, v6, v48
	v_add_f16_e32 v35, v35, v44
	v_sub_f16_e32 v44, v68, v125
	v_add_f16_e32 v68, v130, v70
	;; [unrolled: 2-line block ×3, first 2 shown]
	v_sub_f16_e32 v46, v70, v130
	v_pack_b32_f16 v70, v111, v112
	v_add_f16_e32 v48, v124, v69
	v_sub_f16_e32 v69, v100, v129
	v_add_f16_e32 v101, v49, v45
	v_sub_f16_e32 v119, v109, v55
	;; [unrolled: 2-line block ×3, first 2 shown]
	v_add_f16_e32 v49, v129, v100
	v_pack_b32_f16 v100, v113, v114
	v_pack_b32_f16 v109, v115, v116
	;; [unrolled: 1-line block ×8, first 2 shown]
	ds_write2_b32 v99, v11, v70 offset1:32
	ds_write2_b32 v99, v100, v109 offset0:64 offset1:96
	ds_write2_b32 v99, v7, v10 offset0:128 offset1:160
	ds_write_b32 v99, v34 offset:768
	ds_write2_b32 v98, v47, v37 offset1:32
	v_pack_b32_f16 v7, v54, v8
	v_pack_b32_f16 v6, v6, v35
	;; [unrolled: 1-line block ×3, first 2 shown]
	ds_write2_b32 v98, v50, v51 offset0:64 offset1:96
	ds_write2_b32 v98, v7, v6 offset0:128 offset1:160
	ds_write_b32 v98, v8 offset:768
	v_lshrrev_b16 v6, 5, v38
	v_mov_b32_e32 v7, 0x2493
	v_lshlrev_b32_e32 v100, 2, v4
	v_pack_b32_f16 v4, v126, v5
	v_pack_b32_f16 v5, v68, v69
	v_add_f16_e32 v120, v9, v110
	v_mul_u32_u24_sdwa v6, v6, v7 dst_sel:DWORD dst_unused:UNUSED_PAD src0_sel:WORD_0 src1_sel:DWORD
	v_sub_f16_e32 v9, v110, v9
	v_pack_b32_f16 v8, v101, v108
	ds_write2_b32 v100, v4, v5 offset1:32
	v_mad_u64_u32 v[4:5], null, v85, 24, s[2:3]
	v_lshrrev_b32_e32 v6, 16, v6
	v_pack_b32_f16 v10, v119, v120
	v_pack_b32_f16 v9, v55, v9
	;; [unrolled: 1-line block ×4, first 2 shown]
	v_mul_lo_u16 v6, 0xe0, v6
	ds_write2_b32 v100, v8, v10 offset0:64 offset1:96
	ds_write2_b32 v100, v9, v7 offset0:128 offset1:160
	ds_write_b32 v100, v11 offset:768
	s_waitcnt lgkmcnt(0)
	s_barrier
	v_sub_nc_u16 v44, v38, v6
	buffer_gl0_inv
	s_clause 0x1
	global_load_dwordx4 v[8:11], v[4:5], off offset:864
	global_load_dwordx2 v[36:37], v[4:5], off offset:880
	v_mul_lo_u16 v6, v44, 24
	v_and_b32_e32 v4, 0xffff, v6
	v_add_co_u32 v34, s1, s2, v4
	v_add_co_ci_u32_e64 v35, null, s3, 0, s1
	s_clause 0x1
	global_load_dwordx4 v[4:7], v[34:35], off offset:864
	global_load_dwordx2 v[34:35], v[34:35], off offset:880
	ds_read2_b32 v[45:46], v57 offset1:224
	ds_read2_b32 v[47:48], v52 offset1:224
	;; [unrolled: 1-line block ×9, first 2 shown]
	ds_read_b32 v51, v71 offset:17920
	ds_read2_b32 v[110:111], v71 offset1:224
	s_waitcnt vmcnt(0) lgkmcnt(0)
	s_barrier
	buffer_gl0_inv
	v_add_co_u32 v40, s1, s2, v40
	v_lshrrev_b32_e32 v101, 16, v46
	v_lshrrev_b32_e32 v112, 16, v47
	;; [unrolled: 1-line block ×18, first 2 shown]
	v_mul_f16_sdwa v129, v101, v8 dst_sel:DWORD dst_unused:UNUSED_PAD src0_sel:DWORD src1_sel:WORD_1
	v_mul_f16_sdwa v130, v46, v8 dst_sel:DWORD dst_unused:UNUSED_PAD src0_sel:DWORD src1_sel:WORD_1
	;; [unrolled: 1-line block ×25, first 2 shown]
	v_fma_f16 v46, v46, v8, -v129
	v_fmac_f16_e32 v130, v101, v8
	v_fma_f16 v47, v47, v9, -v131
	v_fmac_f16_e32 v132, v112, v9
	;; [unrolled: 2-line block ×10, first 2 shown]
	v_mul_f16_sdwa v153, v123, v4 dst_sel:DWORD dst_unused:UNUSED_PAD src0_sel:DWORD src1_sel:WORD_1
	v_mul_f16_sdwa v154, v68, v4 dst_sel:DWORD dst_unused:UNUSED_PAD src0_sel:DWORD src1_sel:WORD_1
	;; [unrolled: 1-line block ×7, first 2 shown]
	v_fma_f16 v69, v69, v10, -v145
	v_fmac_f16_e32 v146, v119, v10
	v_fma_f16 v55, v55, v11, -v147
	v_fmac_f16_e32 v148, v120, v11
	v_fma_f16 v108, v109, v34, -v161
	v_add_f16_e32 v109, v46, v65
	v_add_f16_e32 v112, v130, v140
	v_sub_f16_e32 v46, v46, v65
	v_sub_f16_e32 v65, v130, v140
	v_add_f16_e32 v113, v47, v64
	v_add_f16_e32 v114, v132, v138
	v_sub_f16_e32 v47, v47, v64
	v_sub_f16_e32 v64, v132, v138
	;; [unrolled: 4-line block ×3, first 2 shown]
	v_add_f16_e32 v117, v67, v66
	v_add_f16_e32 v118, v142, v152
	;; [unrolled: 1-line block ×4, first 2 shown]
	v_mul_f16_sdwa v157, v125, v6 dst_sel:DWORD dst_unused:UNUSED_PAD src0_sel:DWORD src1_sel:WORD_1
	v_mul_f16_sdwa v158, v70, v6 dst_sel:DWORD dst_unused:UNUSED_PAD src0_sel:DWORD src1_sel:WORD_1
	;; [unrolled: 1-line block ×4, first 2 shown]
	v_fma_f16 v68, v68, v4, -v153
	v_fmac_f16_e32 v154, v123, v4
	v_fma_f16 v49, v49, v5, -v155
	v_fmac_f16_e32 v156, v124, v5
	v_fmac_f16_e32 v162, v127, v34
	v_fma_f16 v51, v51, v35, -v163
	v_fmac_f16_e32 v164, v128, v35
	v_sub_f16_e32 v48, v48, v101
	v_sub_f16_e32 v101, v144, v150
	v_add_f16_e32 v121, v69, v55
	v_add_f16_e32 v122, v146, v148
	v_sub_f16_e32 v55, v55, v69
	v_sub_f16_e32 v69, v148, v146
	v_add_f16_e32 v129, v113, v109
	v_add_f16_e32 v130, v114, v112
	v_sub_f16_e32 v131, v113, v109
	v_sub_f16_e32 v132, v114, v112
	;; [unrolled: 1-line block ×6, first 2 shown]
	v_add_f16_e32 v133, v50, v47
	v_add_f16_e32 v134, v54, v64
	v_sub_f16_e32 v135, v50, v47
	v_sub_f16_e32 v136, v54, v64
	;; [unrolled: 1-line block ×4, first 2 shown]
	v_add_f16_e32 v137, v119, v117
	v_add_f16_e32 v138, v120, v118
	v_fma_f16 v70, v70, v6, -v157
	v_fmac_f16_e32 v158, v125, v6
	v_fma_f16 v63, v63, v7, -v159
	v_fmac_f16_e32 v160, v126, v7
	v_sub_f16_e32 v66, v67, v66
	v_sub_f16_e32 v67, v142, v152
	v_add_f16_e32 v123, v68, v51
	v_add_f16_e32 v124, v154, v164
	;; [unrolled: 1-line block ×4, first 2 shown]
	v_sub_f16_e32 v50, v46, v50
	v_sub_f16_e32 v54, v65, v54
	v_sub_f16_e32 v139, v119, v117
	v_sub_f16_e32 v140, v120, v118
	v_sub_f16_e32 v117, v117, v121
	v_sub_f16_e32 v118, v118, v122
	v_sub_f16_e32 v119, v121, v119
	v_sub_f16_e32 v120, v122, v120
	v_add_f16_e32 v141, v55, v48
	v_add_f16_e32 v142, v69, v101
	v_sub_f16_e32 v143, v55, v48
	v_sub_f16_e32 v144, v69, v101
	v_add_f16_e32 v115, v115, v129
	v_add_f16_e32 v116, v116, v130
	;; [unrolled: 1-line block ×4, first 2 shown]
	v_mul_f16_e32 v109, 0x3a52, v109
	v_mul_f16_e32 v112, 0x3a52, v112
	;; [unrolled: 1-line block ×8, first 2 shown]
	v_add_f16_e32 v121, v121, v137
	v_add_f16_e32 v122, v122, v138
	v_sub_f16_e32 v51, v68, v51
	v_sub_f16_e32 v49, v49, v108
	;; [unrolled: 1-line block ×3, first 2 shown]
	v_add_f16_e32 v127, v70, v63
	v_add_f16_e32 v128, v158, v160
	v_sub_f16_e32 v63, v63, v70
	v_sub_f16_e32 v70, v160, v158
	;; [unrolled: 1-line block ×4, first 2 shown]
	v_add_f16_e32 v145, v125, v123
	v_add_f16_e32 v146, v126, v124
	v_sub_f16_e32 v68, v154, v164
	v_sub_f16_e32 v55, v66, v55
	;; [unrolled: 1-line block ×3, first 2 shown]
	v_add_f16_e32 v66, v141, v66
	v_add_f16_e32 v67, v142, v67
	v_mul_f16_e32 v117, 0x3a52, v117
	v_mul_f16_e32 v118, 0x3a52, v118
	;; [unrolled: 1-line block ×6, first 2 shown]
	v_add_f16_e32 v153, v110, v115
	v_add_f16_sdwa v110, v110, v116 dst_sel:DWORD dst_unused:UNUSED_PAD src0_sel:WORD_1 src1_sel:DWORD
	v_fmamk_f16 v113, v113, 0x2b26, v109
	v_fmamk_f16 v114, v114, 0x2b26, v112
	v_fma_f16 v129, v131, 0x39e0, -v129
	v_fma_f16 v130, v132, 0x39e0, -v130
	v_fma_f16 v109, v131, 0xb9e0, -v109
	v_fma_f16 v112, v132, 0xb9e0, -v112
	v_fmamk_f16 v131, v50, 0x3574, v133
	v_fmamk_f16 v132, v54, 0x3574, v134
	v_fma_f16 v47, v47, 0x3b00, -v133
	v_fma_f16 v64, v64, 0x3b00, -v134
	;; [unrolled: 1-line block ×4, first 2 shown]
	v_add_f16_e32 v133, v111, v121
	v_add_f16_sdwa v111, v111, v122 dst_sel:DWORD dst_unused:UNUSED_PAD src0_sel:WORD_1 src1_sel:DWORD
	v_sub_f16_e32 v147, v125, v123
	v_sub_f16_e32 v148, v126, v124
	v_sub_f16_e32 v123, v123, v127
	v_sub_f16_e32 v124, v124, v128
	v_sub_f16_e32 v125, v127, v125
	v_sub_f16_e32 v126, v128, v126
	v_add_f16_e32 v149, v63, v49
	v_add_f16_e32 v150, v70, v108
	v_sub_f16_e32 v151, v63, v49
	v_sub_f16_e32 v152, v70, v108
	;; [unrolled: 1-line block ×3, first 2 shown]
	v_mul_f16_e32 v143, 0x3b00, v48
	v_mul_f16_e32 v144, 0x3b00, v101
	v_add_f16_e32 v127, v127, v145
	v_add_f16_e32 v128, v128, v146
	v_sub_f16_e32 v108, v108, v68
	v_fmamk_f16 v119, v119, 0x2b26, v117
	v_fmamk_f16 v120, v120, 0x2b26, v118
	v_fma_f16 v134, v139, 0x39e0, -v137
	v_fma_f16 v135, v140, 0x39e0, -v138
	;; [unrolled: 1-line block ×4, first 2 shown]
	v_fmamk_f16 v115, v115, 0xbcab, v153
	v_fmamk_f16 v116, v116, 0xbcab, v110
	v_fmac_f16_e32 v131, 0x370e, v46
	v_fmac_f16_e32 v132, 0x370e, v65
	;; [unrolled: 1-line block ×6, first 2 shown]
	v_fmamk_f16 v46, v121, 0xbcab, v133
	v_fmamk_f16 v65, v122, 0xbcab, v111
	v_sub_f16_e32 v63, v51, v63
	v_sub_f16_e32 v70, v68, v70
	v_add_f16_e32 v51, v149, v51
	v_add_f16_e32 v68, v150, v68
	v_mul_f16_e32 v123, 0x3a52, v123
	v_mul_f16_e32 v124, 0x3a52, v124
	;; [unrolled: 1-line block ×6, first 2 shown]
	v_fma_f16 v117, v139, 0xb9e0, -v117
	v_fma_f16 v118, v140, 0xb9e0, -v118
	v_fmamk_f16 v136, v55, 0x3574, v141
	v_fmamk_f16 v137, v69, 0x3574, v142
	v_fma_f16 v55, v55, 0xb574, -v143
	v_fma_f16 v69, v69, 0xb574, -v144
	v_add_f16_e32 v138, v45, v127
	v_add_f16_sdwa v45, v45, v128 dst_sel:DWORD dst_unused:UNUSED_PAD src0_sel:WORD_1 src1_sel:DWORD
	v_mul_f16_e32 v145, 0x2b26, v125
	v_mul_f16_e32 v152, 0x3b00, v108
	v_fmac_f16_e32 v48, 0x370e, v66
	v_fmac_f16_e32 v101, 0x370e, v67
	v_add_f16_e32 v113, v113, v115
	v_add_f16_e32 v114, v114, v116
	;; [unrolled: 1-line block ×10, first 2 shown]
	v_fmamk_f16 v125, v125, 0x2b26, v123
	v_fmamk_f16 v126, v126, 0x2b26, v124
	v_fma_f16 v140, v148, 0x39e0, -v146
	v_fma_f16 v124, v148, 0xb9e0, -v124
	v_fmamk_f16 v141, v63, 0x3574, v149
	v_fmamk_f16 v142, v70, 0x3574, v150
	v_fma_f16 v63, v63, 0xb574, -v151
	v_fmac_f16_e32 v136, 0x370e, v66
	v_fmac_f16_e32 v137, 0x370e, v67
	;; [unrolled: 1-line block ×4, first 2 shown]
	v_fmamk_f16 v66, v127, 0xbcab, v138
	v_fmamk_f16 v67, v128, 0xbcab, v45
	v_add_f16_e32 v46, v117, v46
	v_add_f16_e32 v65, v118, v65
	v_fma_f16 v139, v147, 0x39e0, -v145
	v_fma_f16 v123, v147, 0xb9e0, -v123
	;; [unrolled: 1-line block ×3, first 2 shown]
	v_add_f16_e32 v117, v132, v113
	v_sub_f16_e32 v118, v114, v131
	v_add_f16_e32 v127, v54, v109
	v_sub_f16_e32 v128, v112, v50
	v_sub_f16_e32 v54, v109, v54
	v_add_f16_e32 v50, v50, v112
	v_sub_f16_e32 v109, v113, v132
	v_add_f16_e32 v112, v131, v114
	;; [unrolled: 2-line block ×3, first 2 shown]
	v_add_f16_e32 v101, v101, v119
	v_sub_f16_e32 v48, v120, v48
	v_fma_f16 v49, v49, 0x3b00, -v149
	v_fma_f16 v108, v108, 0x3b00, -v150
	v_sub_f16_e32 v129, v121, v64
	v_add_f16_e32 v130, v47, v122
	v_add_f16_e32 v64, v64, v121
	v_sub_f16_e32 v47, v122, v47
	v_add_f16_e32 v113, v137, v115
	v_sub_f16_e32 v114, v116, v136
	;; [unrolled: 2-line block ×3, first 2 shown]
	v_sub_f16_e32 v46, v46, v69
	v_add_f16_e32 v55, v55, v65
	v_sub_f16_e32 v65, v115, v137
	v_add_f16_e32 v69, v136, v116
	v_add_f16_e32 v115, v125, v66
	;; [unrolled: 1-line block ×5, first 2 shown]
	v_fmac_f16_e32 v142, 0x370e, v68
	v_fmac_f16_e32 v63, 0x370e, v51
	v_add_f16_e32 v119, v139, v66
	v_add_f16_e32 v66, v123, v66
	v_fmac_f16_e32 v141, 0x370e, v51
	v_fmac_f16_e32 v70, 0x370e, v68
	v_pack_b32_f16 v48, v101, v48
	v_mov_b32_e32 v101, 2
	v_fmac_f16_e32 v49, 0x370e, v51
	v_fmac_f16_e32 v108, 0x370e, v68
	v_add_f16_e32 v51, v142, v115
	v_sub_f16_e32 v124, v67, v63
	v_add_f16_e32 v63, v63, v67
	v_sub_f16_e32 v67, v115, v142
	v_pack_b32_f16 v110, v153, v110
	v_pack_b32_f16 v115, v117, v118
	v_sub_f16_e32 v68, v116, v141
	v_add_f16_e32 v123, v70, v66
	v_sub_f16_e32 v66, v66, v70
	v_add_f16_e32 v70, v141, v116
	v_pack_b32_f16 v116, v127, v128
	v_pack_b32_f16 v117, v129, v130
	;; [unrolled: 1-line block ×4, first 2 shown]
	v_lshlrev_b32_sdwa v101, v101, v44 dst_sel:DWORD dst_unused:UNUSED_PAD src0_sel:DWORD src1_sel:WORD_0
	v_sub_f16_e32 v125, v119, v108
	v_add_f16_e32 v126, v49, v120
	v_pack_b32_f16 v54, v109, v112
	v_pack_b32_f16 v64, v133, v111
	v_add_f16_e32 v108, v108, v119
	v_sub_f16_e32 v49, v120, v49
	ds_write2_b32 v71, v110, v115 offset1:224
	ds_write2_b32 v57, v116, v117 offset1:224
	v_pack_b32_f16 v109, v113, v114
	v_pack_b32_f16 v110, v121, v122
	v_pack_b32_f16 v111, v131, v132
	v_pack_b32_f16 v44, v46, v55
	v_pack_b32_f16 v46, v65, v69
	ds_write2_b32 v59, v47, v50 offset1:224
	ds_write2_b32 v52, v54, v64 offset1:224
	;; [unrolled: 1-line block ×4, first 2 shown]
	v_pack_b32_f16 v45, v138, v45
	v_pack_b32_f16 v47, v51, v68
	v_add_nc_u32_e32 v48, 0x3100, v101
	v_pack_b32_f16 v50, v123, v124
	v_pack_b32_f16 v51, v125, v126
	v_add_nc_u32_e32 v54, 0x3800, v101
	;; [unrolled: 3-line block ×3, first 2 shown]
	v_pack_b32_f16 v64, v67, v70
	ds_write2_b32 v56, v44, v46 offset1:224
	ds_write2_b32 v48, v45, v47 offset1:224
	;; [unrolled: 1-line block ×4, first 2 shown]
	ds_write_b32 v101, v64 offset:17920
	v_add_co_ci_u32_e64 v45, null, s3, 0, s1
	v_add_co_u32 v44, s1, 0x1800, v40
	v_lshlrev_b32_e32 v108, 3, v38
	v_add_co_ci_u32_e64 v45, s1, 0, v45, s1
	v_add_co_u32 v39, s1, s2, v39
	v_add_co_ci_u32_e64 v40, null, s3, 0, s1
	v_lshlrev_b32_e32 v63, 3, v43
	v_add_co_u32 v38, s1, 0x1800, v39
	v_add_co_ci_u32_e64 v39, s1, 0, v40, s1
	v_add_co_u32 v40, s1, s2, v108
	v_add_co_ci_u32_e64 v47, null, s3, 0, s1
	s_waitcnt lgkmcnt(0)
	v_add_co_u32 v46, s1, 0x1800, v40
	v_lshlrev_b32_e32 v40, 3, v41
	v_add_co_ci_u32_e64 v47, s1, 0, v47, s1
	v_add_co_u32 v41, s1, s2, v42
	v_add_co_ci_u32_e64 v42, null, s3, 0, s1
	v_add_co_u32 v48, s1, s2, v40
	v_add_co_ci_u32_e64 v49, null, s3, 0, s1
	v_add_co_u32 v40, s1, 0x1800, v41
	v_add_co_ci_u32_e64 v41, s1, 0, v42, s1
	v_add_co_u32 v54, s1, 0x1800, v48
	v_add_co_ci_u32_e64 v55, s1, 0, v49, s1
	s_barrier
	buffer_gl0_inv
	s_clause 0x4
	global_load_dwordx2 v[50:51], v[44:45], off offset:96
	global_load_dwordx2 v[48:49], v[38:39], off offset:96
	global_load_dwordx2 v[46:47], v[46:47], off offset:96
	global_load_dwordx2 v[42:43], v[40:41], off offset:96
	global_load_dwordx2 v[38:39], v[54:55], off offset:96
	v_lshl_add_u32 v40, v85, 3, 0x2a00
	v_add_co_u32 v41, s1, s2, v63
	v_add_co_ci_u32_e64 v44, null, s3, 0, s1
	v_add_co_u32 v45, s1, s2, v40
	v_add_co_ci_u32_e64 v55, null, s3, 0, s1
	v_add_co_u32 v40, s1, 0x1800, v41
	v_add_co_ci_u32_e64 v41, s1, 0, v44, s1
	v_add_co_u32 v54, s1, 0x1800, v45
	v_add_co_ci_u32_e64 v55, s1, 0, v55, s1
	s_clause 0x1
	global_load_dwordx2 v[44:45], v[40:41], off offset:96
	global_load_dwordx2 v[40:41], v[54:55], off offset:96
	ds_read2_b32 v[63:64], v71 offset1:224
	ds_read2_b32 v[54:55], v52 offset1:224
	;; [unrolled: 1-line block ×10, first 2 shown]
	ds_read_b32 v121, v71 offset:17920
	v_add_co_u32 v117, s1, 0x4800, v29
	v_add_co_ci_u32_e64 v118, s1, 0, v30, s1
	s_waitcnt lgkmcnt(10)
	v_lshrrev_b32_e32 v122, 16, v63
	s_waitcnt lgkmcnt(9)
	v_lshrrev_b32_e32 v123, 16, v55
	;; [unrolled: 2-line block ×4, first 2 shown]
	v_lshrrev_b32_e32 v127, 16, v66
	v_lshrrev_b32_e32 v129, 16, v68
	s_waitcnt lgkmcnt(5)
	v_lshrrev_b32_e32 v130, 16, v111
	s_waitcnt lgkmcnt(4)
	v_lshrrev_b32_e32 v132, 16, v113
	v_lshrrev_b32_e32 v133, 16, v112
	;; [unrolled: 1-line block ×3, first 2 shown]
	s_waitcnt lgkmcnt(2)
	v_lshrrev_b32_e32 v136, 16, v115
	s_waitcnt lgkmcnt(1)
	v_lshrrev_b32_e32 v137, 16, v119
	v_lshrrev_b32_e32 v138, 16, v116
	;; [unrolled: 1-line block ×3, first 2 shown]
	s_waitcnt lgkmcnt(0)
	v_lshrrev_b32_e32 v140, 16, v121
	v_lshrrev_b32_e32 v125, 16, v64
	;; [unrolled: 1-line block ×7, first 2 shown]
	s_waitcnt vmcnt(6)
	v_mul_f16_sdwa v141, v123, v50 dst_sel:DWORD dst_unused:UNUSED_PAD src0_sel:DWORD src1_sel:WORD_1
	v_mul_f16_sdwa v142, v55, v50 dst_sel:DWORD dst_unused:UNUSED_PAD src0_sel:DWORD src1_sel:WORD_1
	v_mul_f16_sdwa v143, v124, v51 dst_sel:DWORD dst_unused:UNUSED_PAD src0_sel:DWORD src1_sel:WORD_1
	v_mul_f16_sdwa v144, v65, v51 dst_sel:DWORD dst_unused:UNUSED_PAD src0_sel:DWORD src1_sel:WORD_1
	s_waitcnt vmcnt(5)
	v_mul_f16_sdwa v145, v126, v48 dst_sel:DWORD dst_unused:UNUSED_PAD src0_sel:DWORD src1_sel:WORD_1
	v_mul_f16_sdwa v146, v67, v48 dst_sel:DWORD dst_unused:UNUSED_PAD src0_sel:DWORD src1_sel:WORD_1
	v_mul_f16_sdwa v147, v127, v49 dst_sel:DWORD dst_unused:UNUSED_PAD src0_sel:DWORD src1_sel:WORD_1
	v_mul_f16_sdwa v148, v66, v49 dst_sel:DWORD dst_unused:UNUSED_PAD src0_sel:DWORD src1_sel:WORD_1
	;; [unrolled: 5-line block ×5, first 2 shown]
	v_fma_f16 v55, v55, v50, -v141
	v_fmac_f16_e32 v142, v123, v50
	v_fma_f16 v65, v65, v51, -v143
	s_waitcnt vmcnt(1)
	v_mul_f16_sdwa v161, v137, v44 dst_sel:DWORD dst_unused:UNUSED_PAD src0_sel:DWORD src1_sel:WORD_1
	v_mul_f16_sdwa v162, v119, v44 dst_sel:DWORD dst_unused:UNUSED_PAD src0_sel:DWORD src1_sel:WORD_1
	;; [unrolled: 1-line block ×4, first 2 shown]
	s_waitcnt vmcnt(0)
	v_mul_f16_sdwa v165, v139, v40 dst_sel:DWORD dst_unused:UNUSED_PAD src0_sel:DWORD src1_sel:WORD_1
	v_mul_f16_sdwa v166, v120, v40 dst_sel:DWORD dst_unused:UNUSED_PAD src0_sel:DWORD src1_sel:WORD_1
	;; [unrolled: 1-line block ×4, first 2 shown]
	v_fmac_f16_e32 v144, v124, v51
	v_fma_f16 v67, v67, v48, -v145
	v_fmac_f16_e32 v146, v126, v48
	v_fma_f16 v66, v66, v49, -v147
	;; [unrolled: 2-line block ×12, first 2 shown]
	v_fmac_f16_e32 v168, v140, v41
	v_add_f16_e32 v124, v55, v65
	v_add_f16_e32 v129, v142, v144
	;; [unrolled: 1-line block ×7, first 2 shown]
	v_sub_f16_e32 v126, v142, v144
	v_add_f16_e32 v127, v122, v142
	v_sub_f16_e32 v55, v55, v65
	v_sub_f16_e32 v133, v146, v148
	v_add_f16_e32 v135, v125, v146
	v_sub_f16_e32 v139, v150, v152
	v_add_f16_e32 v140, v128, v150
	v_add_f16_e32 v143, v113, v112
	v_sub_f16_e32 v145, v154, v156
	v_add_f16_e32 v146, v131, v154
	v_add_f16_e32 v147, v154, v156
	v_add_f16_e32 v150, v114, v115
	v_sub_f16_e32 v151, v158, v160
	v_add_f16_e32 v153, v134, v158
	;; [unrolled: 4-line block ×3, first 2 shown]
	v_add_f16_e32 v161, v162, v164
	v_add_f16_e32 v162, v54, v120
	;; [unrolled: 1-line block ×3, first 2 shown]
	v_sub_f16_e32 v165, v166, v168
	v_add_f16_e32 v167, v110, v166
	v_add_f16_e32 v166, v166, v168
	v_fma_f16 v63, -0.5, v124, v63
	v_fmac_f16_e32 v122, -0.5, v129
	v_add_f16_e32 v130, v64, v67
	v_sub_f16_e32 v67, v67, v66
	v_fmac_f16_e32 v64, -0.5, v132
	v_fmac_f16_e32 v125, -0.5, v136
	v_add_f16_e32 v137, v69, v68
	v_sub_f16_e32 v68, v68, v111
	v_add_f16_e32 v155, v53, v119
	v_fma_f16 v69, -0.5, v138, v69
	v_fmac_f16_e32 v128, -0.5, v141
	v_add_f16_e32 v142, v70, v113
	v_sub_f16_e32 v149, v113, v112
	v_add_f16_e32 v113, v52, v114
	v_sub_f16_e32 v114, v114, v115
	v_sub_f16_e32 v119, v119, v116
	;; [unrolled: 1-line block ×3, first 2 shown]
	v_fmac_f16_e32 v70, -0.5, v143
	v_fmac_f16_e32 v131, -0.5, v147
	v_fma_f16 v136, -0.5, v150, v52
	v_fmac_f16_e32 v134, -0.5, v154
	v_fmac_f16_e32 v53, -0.5, v157
	;; [unrolled: 1-line block ×3, first 2 shown]
	v_add_f16_e32 v52, v162, v121
	v_fmac_f16_e32 v54, -0.5, v163
	v_fmac_f16_e32 v110, -0.5, v166
	v_fmamk_f16 v121, v126, 0x3aee, v63
	v_fmac_f16_e32 v63, 0xbaee, v126
	v_fmamk_f16 v126, v55, 0xbaee, v122
	v_fmac_f16_e32 v122, 0x3aee, v55
	v_add_f16_e32 v65, v123, v65
	v_add_f16_e32 v123, v127, v144
	;; [unrolled: 1-line block ×4, first 2 shown]
	v_fmamk_f16 v55, v133, 0x3aee, v64
	v_fmac_f16_e32 v64, 0xbaee, v133
	v_fmamk_f16 v133, v67, 0xbaee, v125
	v_fmac_f16_e32 v125, 0x3aee, v67
	v_add_f16_e32 v116, v155, v116
	v_add_f16_e32 v138, v159, v164
	v_fmamk_f16 v67, v139, 0x3aee, v69
	v_fmac_f16_e32 v69, 0xbaee, v139
	v_fmamk_f16 v139, v68, 0xbaee, v128
	v_add_f16_e32 v127, v137, v111
	v_add_f16_e32 v129, v140, v152
	;; [unrolled: 1-line block ×7, first 2 shown]
	v_fmac_f16_e32 v128, 0x3aee, v68
	v_fmamk_f16 v68, v145, 0x3aee, v70
	v_fmac_f16_e32 v70, 0xbaee, v145
	v_fmamk_f16 v140, v149, 0xbaee, v131
	;; [unrolled: 2-line block ×8, first 2 shown]
	v_fmac_f16_e32 v110, 0x3aee, v120
	v_pack_b32_f16 v121, v121, v126
	v_pack_b32_f16 v63, v63, v122
	;; [unrolled: 1-line block ×21, first 2 shown]
	ds_write_b32 v71, v121 offset:6272
	ds_write_b32 v71, v63 offset:12544
	ds_write2_b32 v71, v65, v66 offset1:224
	ds_write_b32 v71, v64 offset:13440
	ds_write2_b32 v60, v55, v67 offset1:224
	ds_write2_b32 v57, v119, v120 offset1:224
	;; [unrolled: 1-line block ×6, first 2 shown]
	ds_write_b32 v71, v124 offset:5376
	ds_write2_b32 v56, v126, v128 offset1:224
	ds_write_b32 v71, v129 offset:17920
	s_waitcnt lgkmcnt(0)
	s_barrier
	buffer_gl0_inv
	global_load_dword v116, v[117:118], off offset:384
	v_add_co_u32 v55, s2, 0x4980, v29
	v_add_co_ci_u32_e64 v56, s2, 0, v30, s2
	v_add_co_u32 v57, s1, 0x5000, v29
	v_add_co_u32 v59, s2, 0x5800, v29
	global_load_dword v121, v[55:56], off offset:896
	v_add_co_u32 v61, s3, 0x6800, v29
	v_add_co_u32 v63, s4, 0x6000, v29
	;; [unrolled: 1-line block ×4, first 2 shown]
	v_add_co_ci_u32_e64 v58, s1, 0, v30, s1
	v_add_co_ci_u32_e64 v60, s1, 0, v30, s2
	;; [unrolled: 1-line block ×3, first 2 shown]
	global_load_dword v125, v[57:58], off offset:688
	v_add_co_u32 v69, s7, 0x8800, v29
	v_add_co_ci_u32_e64 v64, s1, 0, v30, s4
	v_add_co_ci_u32_e64 v66, s1, 0, v30, s5
	;; [unrolled: 1-line block ×4, first 2 shown]
	s_clause 0x5
	global_load_dword v126, v[59:60], off offset:992
	global_load_dword v127, v[63:64], off offset:1296
	;; [unrolled: 1-line block ×6, first 2 shown]
	v_add_co_u32 v63, s1, 0x7800, v29
	s_clause 0x1
	global_load_dword v132, v[57:58], off offset:1584
	global_load_dword v133, v[59:60], off offset:1888
	v_add_co_ci_u32_e64 v64, s1, 0, v30, s1
	s_clause 0x4
	global_load_dword v62, v[61:62], off offset:144
	global_load_dword v134, v[65:66], off offset:448
	;; [unrolled: 1-line block ×5, first 2 shown]
	ds_read2_b32 v[58:59], v71 offset1:224
	v_add_nc_u32_e32 v63, 0x1b80, v71
	v_add_nc_u32_e32 v64, 0x2480, v71
	;; [unrolled: 1-line block ×4, first 2 shown]
	s_waitcnt lgkmcnt(0)
	v_lshrrev_b32_e32 v57, 16, v58
	v_lshrrev_b32_e32 v122, 16, v59
	s_waitcnt vmcnt(15)
	v_mul_f16_sdwa v60, v57, v116 dst_sel:DWORD dst_unused:UNUSED_PAD src0_sel:DWORD src1_sel:WORD_1
	v_mul_f16_sdwa v61, v58, v116 dst_sel:DWORD dst_unused:UNUSED_PAD src0_sel:DWORD src1_sel:WORD_1
	v_fma_f16 v60, v58, v116, -v60
	v_fmac_f16_e32 v61, v57, v116
	v_add_nc_u32_e32 v57, 0x900, v71
	v_add_nc_u32_e32 v58, 0x1200, v71
	s_waitcnt vmcnt(14)
	v_mul_f16_sdwa v119, v122, v121 dst_sel:DWORD dst_unused:UNUSED_PAD src0_sel:DWORD src1_sel:WORD_1
	v_mul_f16_sdwa v138, v59, v121 dst_sel:DWORD dst_unused:UNUSED_PAD src0_sel:DWORD src1_sel:WORD_1
	v_pack_b32_f16 v60, v60, v61
	v_add_nc_u32_e32 v116, 0x4000, v71
	v_fma_f16 v59, v59, v121, -v119
	v_fmac_f16_e32 v138, v122, v121
	ds_write_b32 v71, v60
	ds_read2_b32 v[60:61], v57 offset0:12 offset1:236
	ds_read2_b32 v[67:68], v58 offset0:24 offset1:248
	;; [unrolled: 1-line block ×7, first 2 shown]
	v_pack_b32_f16 v59, v59, v138
	ds_write_b32 v71, v59 offset:896
	s_waitcnt lgkmcnt(7)
	v_lshrrev_b32_e32 v59, 16, v60
	s_waitcnt vmcnt(13)
	v_mul_f16_sdwa v138, v60, v125 dst_sel:DWORD dst_unused:UNUSED_PAD src0_sel:DWORD src1_sel:WORD_1
	s_waitcnt lgkmcnt(6)
	v_lshrrev_b32_e32 v139, 16, v67
	s_waitcnt vmcnt(12)
	v_mul_f16_sdwa v140, v67, v126 dst_sel:DWORD dst_unused:UNUSED_PAD src0_sel:DWORD src1_sel:WORD_1
	;; [unrolled: 4-line block ×7, first 2 shown]
	v_lshrrev_b32_e32 v151, 16, v61
	s_waitcnt vmcnt(6)
	v_mul_f16_sdwa v152, v61, v132 dst_sel:DWORD dst_unused:UNUSED_PAD src0_sel:DWORD src1_sel:WORD_1
	v_lshrrev_b32_e32 v153, 16, v68
	s_waitcnt vmcnt(5)
	v_mul_f16_sdwa v154, v68, v133 dst_sel:DWORD dst_unused:UNUSED_PAD src0_sel:DWORD src1_sel:WORD_1
	;; [unrolled: 3-line block ×6, first 2 shown]
	v_lshrrev_b32_e32 v163, 16, v124
	v_mul_f16_sdwa v165, v59, v125 dst_sel:DWORD dst_unused:UNUSED_PAD src0_sel:DWORD src1_sel:WORD_1
	v_fmac_f16_e32 v138, v59, v125
	v_mul_f16_sdwa v59, v139, v126 dst_sel:DWORD dst_unused:UNUSED_PAD src0_sel:DWORD src1_sel:WORD_1
	v_fmac_f16_e32 v140, v139, v126
	;; [unrolled: 2-line block ×11, first 2 shown]
	v_mul_f16_sdwa v157, v159, v135 dst_sel:DWORD dst_unused:UNUSED_PAD src0_sel:DWORD src1_sel:WORD_1
	s_waitcnt vmcnt(0)
	v_mul_f16_sdwa v164, v124, v137 dst_sel:DWORD dst_unused:UNUSED_PAD src0_sel:DWORD src1_sel:WORD_1
	v_fmac_f16_e32 v160, v159, v135
	v_mul_f16_sdwa v159, v161, v136 dst_sel:DWORD dst_unused:UNUSED_PAD src0_sel:DWORD src1_sel:WORD_1
	v_fmac_f16_e32 v162, v161, v136
	v_mul_f16_sdwa v161, v163, v137 dst_sel:DWORD dst_unused:UNUSED_PAD src0_sel:DWORD src1_sel:WORD_1
	v_fma_f16 v60, v60, v125, -v165
	v_fma_f16 v61, v61, v132, -v149
	v_fma_f16 v59, v67, v126, -v59
	v_fma_f16 v68, v68, v133, -v151
	v_fma_f16 v67, v69, v127, -v139
	v_fma_f16 v62, v70, v62, -v153
	v_fma_f16 v69, v117, v128, -v141
	v_fma_f16 v70, v118, v134, -v155
	v_fma_f16 v117, v119, v129, -v143
	v_fma_f16 v118, v120, v135, -v157
	v_fmac_f16_e32 v164, v163, v137
	v_fma_f16 v119, v121, v130, -v145
	v_fma_f16 v121, v123, v131, -v147
	;; [unrolled: 1-line block ×4, first 2 shown]
	v_pack_b32_f16 v60, v60, v138
	v_pack_b32_f16 v61, v61, v152
	;; [unrolled: 1-line block ×14, first 2 shown]
	ds_write2_b32 v57, v60, v61 offset0:12 offset1:236
	ds_write2_b32 v58, v59, v68 offset0:24 offset1:248
	;; [unrolled: 1-line block ×7, first 2 shown]
	s_and_saveexec_b32 s2, vcc_lo
	s_cbranch_execz .LBB0_15
; %bb.14:
	v_add_co_u32 v59, s1, 0x1000, v55
	v_add_co_ci_u32_e64 v60, s1, 0, v56, s1
	v_add_co_u32 v61, s1, 0x1800, v55
	v_add_co_ci_u32_e64 v62, s1, 0, v56, s1
	;; [unrolled: 2-line block ×4, first 2 shown]
	s_clause 0x4
	global_load_dword v117, v[55:56], off offset:1792
	global_load_dword v118, v[59:60], off offset:48
	global_load_dword v119, v[61:62], off offset:352
	global_load_dword v67, v[67:68], off offset:656
	global_load_dword v68, v[69:70], off offset:960
	v_add_co_u32 v59, s1, 0x3000, v55
	v_add_co_ci_u32_e64 v60, s1, 0, v56, s1
	v_add_co_u32 v61, s1, 0x3800, v55
	v_add_co_ci_u32_e64 v62, s1, 0, v56, s1
	;; [unrolled: 2-line block ×3, first 2 shown]
	s_clause 0x2
	global_load_dword v59, v[59:60], off offset:1264
	global_load_dword v60, v[61:62], off offset:1568
	;; [unrolled: 1-line block ×3, first 2 shown]
	ds_read_b32 v56, v71 offset:1792
	ds_read_b32 v61, v71 offset:4144
	;; [unrolled: 1-line block ×8, first 2 shown]
	s_waitcnt lgkmcnt(7)
	v_lshrrev_b32_e32 v123, 16, v56
	s_waitcnt lgkmcnt(6)
	v_lshrrev_b32_e32 v124, 16, v61
	;; [unrolled: 2-line block ×8, first 2 shown]
	s_waitcnt vmcnt(7)
	v_mul_f16_sdwa v128, v123, v117 dst_sel:DWORD dst_unused:UNUSED_PAD src0_sel:DWORD src1_sel:WORD_1
	v_mul_f16_sdwa v129, v56, v117 dst_sel:DWORD dst_unused:UNUSED_PAD src0_sel:DWORD src1_sel:WORD_1
	s_waitcnt vmcnt(5)
	v_mul_f16_sdwa v133, v62, v119 dst_sel:DWORD dst_unused:UNUSED_PAD src0_sel:DWORD src1_sel:WORD_1
	s_waitcnt vmcnt(4)
	v_mul_f16_sdwa v134, v126, v67 dst_sel:DWORD dst_unused:UNUSED_PAD src0_sel:DWORD src1_sel:WORD_1
	v_mul_f16_sdwa v135, v69, v67 dst_sel:DWORD dst_unused:UNUSED_PAD src0_sel:DWORD src1_sel:WORD_1
	v_fma_f16 v56, v56, v117, -v128
	v_fmac_f16_e32 v129, v123, v117
	v_mul_f16_sdwa v117, v124, v118 dst_sel:DWORD dst_unused:UNUSED_PAD src0_sel:DWORD src1_sel:WORD_1
	v_mul_f16_sdwa v123, v61, v118 dst_sel:DWORD dst_unused:UNUSED_PAD src0_sel:DWORD src1_sel:WORD_1
	;; [unrolled: 1-line block ×3, first 2 shown]
	s_waitcnt vmcnt(3)
	v_mul_f16_sdwa v136, v127, v68 dst_sel:DWORD dst_unused:UNUSED_PAD src0_sel:DWORD src1_sel:WORD_1
	v_mul_f16_sdwa v137, v70, v68 dst_sel:DWORD dst_unused:UNUSED_PAD src0_sel:DWORD src1_sel:WORD_1
	v_fma_f16 v61, v61, v118, -v117
	v_fmac_f16_e32 v123, v124, v118
	v_pack_b32_f16 v56, v56, v129
	v_fma_f16 v62, v62, v119, -v128
	s_waitcnt vmcnt(2)
	v_mul_f16_sdwa v138, v130, v59 dst_sel:DWORD dst_unused:UNUSED_PAD src0_sel:DWORD src1_sel:WORD_1
	v_mul_f16_sdwa v139, v120, v59 dst_sel:DWORD dst_unused:UNUSED_PAD src0_sel:DWORD src1_sel:WORD_1
	s_waitcnt vmcnt(1)
	v_mul_f16_sdwa v140, v131, v60 dst_sel:DWORD dst_unused:UNUSED_PAD src0_sel:DWORD src1_sel:WORD_1
	v_mul_f16_sdwa v141, v121, v60 dst_sel:DWORD dst_unused:UNUSED_PAD src0_sel:DWORD src1_sel:WORD_1
	;; [unrolled: 3-line block ×3, first 2 shown]
	v_fmac_f16_e32 v133, v125, v119
	v_fma_f16 v69, v69, v67, -v134
	v_fmac_f16_e32 v135, v126, v67
	v_fma_f16 v67, v70, v68, -v136
	;; [unrolled: 2-line block ×5, first 2 shown]
	v_fmac_f16_e32 v143, v132, v55
	v_pack_b32_f16 v55, v61, v123
	ds_write_b32 v71, v56 offset:1792
	v_pack_b32_f16 v56, v62, v133
	v_pack_b32_f16 v61, v69, v135
	;; [unrolled: 1-line block ×6, first 2 shown]
	ds_write_b32 v71, v55 offset:4144
	ds_write_b32 v71, v56 offset:6496
	;; [unrolled: 1-line block ×7, first 2 shown]
.LBB0_15:
	s_or_b32 exec_lo, exec_lo, s2
	s_waitcnt lgkmcnt(0)
	s_barrier
	buffer_gl0_inv
	ds_read2_b32 v[59:60], v71 offset1:224
	ds_read2_b32 v[55:56], v57 offset0:12 offset1:236
	ds_read2_b32 v[61:62], v58 offset0:24 offset1:248
	ds_read2_b32 v[57:58], v63 offset0:4 offset1:228
	ds_read2_b32 v[69:70], v64 offset0:16 offset1:240
	ds_read2_b32 v[63:64], v65 offset0:28 offset1:252
	ds_read2_b32 v[67:68], v66 offset0:8 offset1:232
	ds_read2_b32 v[65:66], v116 offset0:20 offset1:244
	s_and_saveexec_b32 s1, vcc_lo
	s_cbranch_execz .LBB0_17
; %bb.16:
	ds_read_b32 v112, v71 offset:1792
	ds_read_b32 v53, v71 offset:4144
	;; [unrolled: 1-line block ×8, first 2 shown]
	s_waitcnt lgkmcnt(7)
	v_lshrrev_b32_e32 v115, 16, v112
	s_waitcnt lgkmcnt(6)
	v_lshrrev_b32_e32 v109, 16, v53
	;; [unrolled: 2-line block ×8, first 2 shown]
.LBB0_17:
	s_or_b32 exec_lo, exec_lo, s1
	s_waitcnt lgkmcnt(3)
	v_pk_add_f16 v116, v59, v69 neg_lo:[0,1] neg_hi:[0,1]
	s_waitcnt lgkmcnt(1)
	v_pk_add_f16 v117, v61, v67 neg_lo:[0,1] neg_hi:[0,1]
	v_pk_add_f16 v118, v55, v63 neg_lo:[0,1] neg_hi:[0,1]
	s_waitcnt lgkmcnt(0)
	v_pk_add_f16 v119, v57, v65 neg_lo:[0,1] neg_hi:[0,1]
	v_pk_add_f16 v124, v60, v70 neg_lo:[0,1] neg_hi:[0,1]
	v_lshrrev_b32_e32 v63, 16, v116
	v_add_f16_sdwa v65, v116, v117 dst_sel:DWORD dst_unused:UNUSED_PAD src0_sel:DWORD src1_sel:WORD_1
	v_lshrrev_b32_e32 v67, 16, v118
	v_add_f16_sdwa v69, v118, v119 dst_sel:DWORD dst_unused:UNUSED_PAD src0_sel:DWORD src1_sel:WORD_1
	v_pk_add_f16 v127, v56, v64 neg_lo:[0,1] neg_hi:[0,1]
	v_sub_f16_e32 v120, v63, v117
	v_fma_f16 v121, v116, 2.0, -v65
	v_sub_f16_e32 v122, v67, v119
	v_fma_f16 v123, v118, 2.0, -v69
	v_pk_add_f16 v126, v62, v68 neg_lo:[0,1] neg_hi:[0,1]
	v_fma_f16 v63, v63, 2.0, -v120
	v_pk_add_f16 v128, v58, v66 neg_lo:[0,1] neg_hi:[0,1]
	v_fma_f16 v67, v67, 2.0, -v122
	v_fmamk_f16 v125, v123, 0xb9a8, v121
	v_lshrrev_b32_e32 v64, 16, v124
	v_add_f16_sdwa v66, v124, v126 dst_sel:DWORD dst_unused:UNUSED_PAD src0_sel:DWORD src1_sel:WORD_1
	v_add_f16_sdwa v70, v127, v128 dst_sel:DWORD dst_unused:UNUSED_PAD src0_sel:DWORD src1_sel:WORD_1
	v_fmamk_f16 v129, v67, 0xb9a8, v63
	v_fmac_f16_e32 v125, 0x39a8, v67
	v_lshrrev_b32_e32 v67, 16, v127
	v_sub_f16_e32 v68, v64, v126
	v_fmamk_f16 v130, v69, 0x39a8, v65
	v_fmac_f16_e32 v129, 0xb9a8, v123
	v_fma_f16 v131, v124, 2.0, -v66
	v_sub_f16_e32 v123, v67, v128
	v_fma_f16 v64, v64, 2.0, -v68
	v_fma_f16 v132, v127, 2.0, -v70
	v_fmamk_f16 v133, v122, 0x39a8, v120
	v_fmac_f16_e32 v130, 0x39a8, v122
	v_fma_f16 v67, v67, 2.0, -v123
	v_fmamk_f16 v137, v70, 0x39a8, v66
	v_fmamk_f16 v134, v132, 0xb9a8, v131
	v_fma_f16 v122, v63, 2.0, -v129
	v_fmac_f16_e32 v133, 0xb9a8, v69
	v_fmamk_f16 v135, v67, 0xb9a8, v64
	v_fma_f16 v136, v65, 2.0, -v130
	v_fmac_f16_e32 v134, 0x39a8, v67
	v_fmac_f16_e32 v137, 0x39a8, v123
	v_sub_f16_e32 v67, v112, v54
	v_fmac_f16_e32 v135, 0xb9a8, v132
	v_fmamk_f16 v132, v123, 0x39a8, v68
	v_sub_f16_e32 v69, v115, v110
	v_sub_f16_e32 v65, v52, v105
	;; [unrolled: 1-line block ×4, first 2 shown]
	v_fmac_f16_e32 v132, 0xb9a8, v70
	v_sub_f16_e32 v70, v53, v104
	v_sub_f16_e32 v104, v109, v106
	v_sub_f16_e32 v103, v114, v103
	v_fma_f16 v123, v131, 2.0, -v134
	v_fma_f16 v131, v64, 2.0, -v135
	;; [unrolled: 1-line block ×11, first 2 shown]
	v_sub_f16_e32 v52, v54, v52
	v_sub_f16_e32 v53, v66, v64
	v_add_f16_e32 v64, v63, v67
	v_sub_f16_e32 v65, v69, v65
	v_add_f16_e32 v110, v103, v70
	v_sub_f16_e32 v107, v105, v107
	v_sub_f16_e32 v103, v106, v109
	;; [unrolled: 1-line block ×3, first 2 shown]
	v_pk_fma_f16 v59, v59, 2.0, v116 op_sel_hi:[1,0,1] neg_lo:[0,0,1] neg_hi:[0,0,1]
	v_pk_fma_f16 v61, v61, 2.0, v117 op_sel_hi:[1,0,1] neg_lo:[0,0,1] neg_hi:[0,0,1]
	v_fma_f16 v54, v54, 2.0, -v52
	v_fma_f16 v63, v66, 2.0, -v53
	;; [unrolled: 1-line block ×8, first 2 shown]
	v_pk_fma_f16 v55, v55, 2.0, v118 op_sel_hi:[1,0,1] neg_lo:[0,0,1] neg_hi:[0,0,1]
	v_pk_fma_f16 v57, v57, 2.0, v119 op_sel_hi:[1,0,1] neg_lo:[0,0,1] neg_hi:[0,0,1]
	v_pk_add_f16 v61, v59, v61 neg_lo:[0,1] neg_hi:[0,1]
	v_fmamk_f16 v70, v111, 0xb9a8, v66
	v_fma_f16 v112, v68, 2.0, -v132
	v_sub_f16_e32 v68, v54, v69
	v_sub_f16_e32 v69, v63, v102
	v_fmamk_f16 v102, v104, 0xb9a8, v67
	v_pk_add_f16 v57, v55, v57 neg_lo:[0,1] neg_hi:[0,1]
	v_fmamk_f16 v105, v109, 0x39a8, v65
	v_sub_f16_e32 v106, v53, v107
	v_lshrrev_b32_e32 v107, 16, v61
	v_pk_fma_f16 v60, v60, 2.0, v124 op_sel_hi:[1,0,1] neg_lo:[0,0,1] neg_hi:[0,0,1]
	v_pk_fma_f16 v62, v62, 2.0, v126 op_sel_hi:[1,0,1] neg_lo:[0,0,1] neg_hi:[0,0,1]
	v_fmac_f16_e32 v70, 0x39a8, v104
	v_fmac_f16_e32 v102, 0xb9a8, v111
	v_add_f16_e32 v104, v103, v52
	v_fmamk_f16 v103, v110, 0x39a8, v64
	v_pk_fma_f16 v55, v55, 2.0, v57 op_sel_hi:[1,0,1] neg_lo:[0,0,1] neg_hi:[0,0,1]
	v_fmac_f16_e32 v105, 0xb9a8, v110
	v_add_f16_sdwa v110, v61, v57 dst_sel:DWORD dst_unused:UNUSED_PAD src0_sel:DWORD src1_sel:WORD_1
	v_sub_f16_e32 v57, v107, v57
	v_pk_fma_f16 v56, v56, 2.0, v127 op_sel_hi:[1,0,1] neg_lo:[0,0,1] neg_hi:[0,0,1]
	v_pk_fma_f16 v58, v58, 2.0, v128 op_sel_hi:[1,0,1] neg_lo:[0,0,1] neg_hi:[0,0,1]
	v_pk_add_f16 v111, v60, v62 neg_lo:[0,1] neg_hi:[0,1]
	v_pk_fma_f16 v59, v59, 2.0, v61 op_sel_hi:[1,0,1] neg_lo:[0,0,1] neg_hi:[0,0,1]
	v_fma_f16 v61, v61, 2.0, -v110
	v_fma_f16 v107, v107, 2.0, -v57
	v_pk_add_f16 v58, v56, v58 neg_lo:[0,1] neg_hi:[0,1]
	v_lshrrev_b32_e32 v113, 16, v111
	v_fma_f16 v121, v121, 2.0, -v125
	v_fma_f16 v120, v120, 2.0, -v133
	v_pack_b32_f16 v61, v61, v107
	v_pk_fma_f16 v107, v60, 2.0, v111 op_sel_hi:[1,0,1] neg_lo:[0,0,1] neg_hi:[0,0,1]
	v_pk_fma_f16 v56, v56, 2.0, v58 op_sel_hi:[1,0,1] neg_lo:[0,0,1] neg_hi:[0,0,1]
	v_add_f16_sdwa v117, v111, v58 dst_sel:DWORD dst_unused:UNUSED_PAD src0_sel:DWORD src1_sel:WORD_1
	v_sub_f16_e32 v118, v113, v58
	v_pk_add_f16 v55, v59, v55 neg_lo:[0,1] neg_hi:[0,1]
	v_fmac_f16_e32 v103, 0x39a8, v109
	v_pk_add_f16 v109, v107, v56 neg_lo:[0,1] neg_hi:[0,1]
	v_fma_f16 v111, v111, 2.0, -v117
	v_fma_f16 v114, v113, 2.0, -v118
	v_pk_fma_f16 v59, v59, 2.0, v55 op_sel_hi:[1,0,1] neg_lo:[0,0,1] neg_hi:[0,0,1]
	v_pack_b32_f16 v62, v136, v120
	v_pack_b32_f16 v60, v121, v122
	;; [unrolled: 1-line block ×5, first 2 shown]
	v_pk_fma_f16 v113, v107, 2.0, v109 op_sel_hi:[1,0,1] neg_lo:[0,0,1] neg_hi:[0,0,1]
	v_pack_b32_f16 v116, v138, v112
	v_pack_b32_f16 v115, v111, v114
	;; [unrolled: 1-line block ×6, first 2 shown]
	s_barrier
	buffer_gl0_inv
	ds_write_b128 v90, v[59:62]
	ds_write_b128 v90, v[55:58] offset:16
	ds_write_b128 v91, v[113:116]
	ds_write_b128 v91, v[109:112] offset:16
	s_and_saveexec_b32 s1, vcc_lo
	s_cbranch_execz .LBB0_19
; %bb.18:
	v_fma_f16 v55, v64, 2.0, -v103
	v_fma_f16 v56, v65, 2.0, -v105
	;; [unrolled: 1-line block ×8, first 2 shown]
	v_lshlrev_b32_e32 v61, 2, v108
	v_pack_b32_f16 v55, v55, v56
	v_pack_b32_f16 v54, v52, v53
	;; [unrolled: 1-line block ×4, first 2 shown]
	v_perm_b32 v59, v105, v103, 0x5040100
	v_perm_b32 v58, v106, v104, 0x5040100
	;; [unrolled: 1-line block ×4, first 2 shown]
	ds_write_b128 v61, v[52:55]
	ds_write_b128 v61, v[56:59] offset:16
.LBB0_19:
	s_or_b32 exec_lo, exec_lo, s1
	v_add_nc_u32_e32 v52, 0x1200, v71
	v_add_nc_u32_e32 v53, 0x2480, v71
	s_waitcnt lgkmcnt(0)
	s_barrier
	buffer_gl0_inv
	ds_read2_b32 v[54:55], v71 offset1:224
	ds_read2_b32 v[64:65], v52 offset0:24 offset1:248
	ds_read2_b32 v[62:63], v53 offset0:16 offset1:240
	v_add_nc_u32_e32 v52, 0x3700, v71
	v_add_nc_u32_e32 v53, 0x700, v71
	;; [unrolled: 1-line block ×5, first 2 shown]
	ds_read2_b32 v[66:67], v52 offset0:8 offset1:232
	ds_read2_b32 v[52:53], v53 offset1:224
	ds_read2_b32 v[60:61], v56 offset0:24 offset1:248
	ds_read2_b32 v[58:59], v57 offset0:16 offset1:240
	;; [unrolled: 1-line block ×3, first 2 shown]
	ds_read_b32 v90, v71 offset:3584
	ds_read_b32 v108, v71 offset:8288
	;; [unrolled: 1-line block ×4, first 2 shown]
	s_and_saveexec_b32 s1, s0
	s_cbranch_execz .LBB0_21
; %bb.20:
	ds_read_b32 v68, v71 offset:4480
	ds_read_b32 v70, v71 offset:9184
	;; [unrolled: 1-line block ×4, first 2 shown]
	s_waitcnt lgkmcnt(3)
	v_lshrrev_b32_e32 v69, 16, v68
	s_waitcnt lgkmcnt(2)
	v_lshrrev_b32_e32 v102, 16, v70
	;; [unrolled: 2-line block ×4, first 2 shown]
.LBB0_21:
	s_or_b32 exec_lo, exec_lo, s1
	s_waitcnt lgkmcnt(10)
	v_lshrrev_b32_e32 v110, 16, v64
	s_waitcnt lgkmcnt(9)
	v_lshrrev_b32_e32 v111, 16, v62
	;; [unrolled: 2-line block ×3, first 2 shown]
	v_lshrrev_b32_e32 v114, 16, v65
	v_mul_f16_sdwa v128, v12, v64 dst_sel:DWORD dst_unused:UNUSED_PAD src0_sel:WORD_1 src1_sel:DWORD
	v_mul_f16_sdwa v127, v12, v110 dst_sel:DWORD dst_unused:UNUSED_PAD src0_sel:WORD_1 src1_sel:DWORD
	;; [unrolled: 1-line block ×3, first 2 shown]
	v_lshrrev_b32_e32 v115, 16, v63
	v_lshrrev_b32_e32 v116, 16, v67
	s_waitcnt lgkmcnt(6)
	v_lshrrev_b32_e32 v118, 16, v60
	v_fmac_f16_e32 v127, v12, v64
	v_fma_f16 v64, v12, v110, -v128
	v_fmac_f16_e32 v129, v13, v62
	v_mul_f16_sdwa v62, v13, v62 dst_sel:DWORD dst_unused:UNUSED_PAD src0_sel:WORD_1 src1_sel:DWORD
	v_mul_f16_sdwa v110, v14, v112 dst_sel:DWORD dst_unused:UNUSED_PAD src0_sel:WORD_1 src1_sel:DWORD
	;; [unrolled: 1-line block ×5, first 2 shown]
	s_waitcnt lgkmcnt(5)
	v_lshrrev_b32_e32 v119, 16, v58
	s_waitcnt lgkmcnt(4)
	v_lshrrev_b32_e32 v120, 16, v56
	v_fma_f16 v62, v13, v111, -v62
	v_fmac_f16_e32 v110, v14, v66
	v_fma_f16 v66, v14, v112, -v128
	v_fmac_f16_e32 v132, v12, v65
	v_fma_f16 v65, v12, v114, -v133
	v_mul_f16_sdwa v111, v13, v115 dst_sel:DWORD dst_unused:UNUSED_PAD src0_sel:WORD_1 src1_sel:DWORD
	v_mul_f16_sdwa v112, v13, v63 dst_sel:DWORD dst_unused:UNUSED_PAD src0_sel:WORD_1 src1_sel:DWORD
	;; [unrolled: 1-line block ×5, first 2 shown]
	v_lshrrev_b32_e32 v122, 16, v61
	v_lshrrev_b32_e32 v123, 16, v59
	v_fmac_f16_e32 v111, v13, v63
	v_fma_f16 v63, v13, v115, -v112
	v_fmac_f16_e32 v114, v14, v67
	v_fma_f16 v67, v14, v116, -v128
	v_fmac_f16_e32 v133, v12, v60
	v_mul_f16_sdwa v60, v12, v60 dst_sel:DWORD dst_unused:UNUSED_PAD src0_sel:WORD_1 src1_sel:DWORD
	v_mul_f16_sdwa v112, v13, v119 dst_sel:DWORD dst_unused:UNUSED_PAD src0_sel:WORD_1 src1_sel:DWORD
	;; [unrolled: 1-line block ×5, first 2 shown]
	v_lshrrev_b32_e32 v124, 16, v57
	s_waitcnt lgkmcnt(2)
	v_lshrrev_b32_e32 v126, 16, v108
	v_fma_f16 v60, v12, v118, -v60
	v_fmac_f16_e32 v112, v13, v58
	v_fma_f16 v58, v13, v119, -v115
	v_fmac_f16_e32 v116, v14, v56
	v_fma_f16 v56, v14, v120, -v128
	v_mul_f16_sdwa v115, v12, v122 dst_sel:DWORD dst_unused:UNUSED_PAD src0_sel:WORD_1 src1_sel:DWORD
	v_mul_f16_sdwa v118, v12, v61 dst_sel:DWORD dst_unused:UNUSED_PAD src0_sel:WORD_1 src1_sel:DWORD
	v_mul_f16_sdwa v119, v13, v123 dst_sel:DWORD dst_unused:UNUSED_PAD src0_sel:WORD_1 src1_sel:DWORD
	v_mul_f16_sdwa v120, v13, v59 dst_sel:DWORD dst_unused:UNUSED_PAD src0_sel:WORD_1 src1_sel:DWORD
	s_waitcnt lgkmcnt(1)
	v_lshrrev_b32_e32 v130, 16, v107
	v_mul_f16_sdwa v128, v14, v124 dst_sel:DWORD dst_unused:UNUSED_PAD src0_sel:WORD_1 src1_sel:DWORD
	v_fmac_f16_e32 v115, v12, v61
	v_fma_f16 v61, v12, v122, -v118
	v_fmac_f16_e32 v119, v13, v59
	v_fma_f16 v59, v13, v123, -v120
	v_mul_f16_sdwa v118, v12, v126 dst_sel:DWORD dst_unused:UNUSED_PAD src0_sel:WORD_1 src1_sel:DWORD
	v_mul_f16_sdwa v120, v12, v108 dst_sel:DWORD dst_unused:UNUSED_PAD src0_sel:WORD_1 src1_sel:DWORD
	s_waitcnt lgkmcnt(0)
	v_lshrrev_b32_e32 v131, 16, v91
	v_fmac_f16_e32 v128, v14, v57
	v_mul_f16_sdwa v57, v14, v57 dst_sel:DWORD dst_unused:UNUSED_PAD src0_sel:WORD_1 src1_sel:DWORD
	v_mul_f16_sdwa v122, v13, v130 dst_sel:DWORD dst_unused:UNUSED_PAD src0_sel:WORD_1 src1_sel:DWORD
	;; [unrolled: 1-line block ×3, first 2 shown]
	v_lshrrev_b32_e32 v109, 16, v54
	v_lshrrev_b32_e32 v113, 16, v55
	v_fmac_f16_e32 v118, v12, v108
	v_fma_f16 v108, v12, v126, -v120
	v_sub_f16_e32 v120, v54, v129
	v_sub_f16_e32 v110, v127, v110
	v_fma_f16 v57, v14, v124, -v57
	v_fmac_f16_e32 v122, v13, v107
	v_fma_f16 v107, v13, v130, -v123
	v_mul_f16_sdwa v123, v14, v131 dst_sel:DWORD dst_unused:UNUSED_PAD src0_sel:WORD_1 src1_sel:DWORD
	v_mul_f16_sdwa v124, v14, v91 dst_sel:DWORD dst_unused:UNUSED_PAD src0_sel:WORD_1 src1_sel:DWORD
	v_lshrrev_b32_e32 v117, 16, v52
	v_sub_f16_e32 v62, v109, v62
	v_sub_f16_e32 v66, v64, v66
	v_lshrrev_b32_e32 v121, 16, v53
	v_fma_f16 v54, v54, 2.0, -v120
	v_fma_f16 v126, v127, 2.0, -v110
	v_sub_f16_e32 v111, v55, v111
	v_sub_f16_e32 v63, v113, v63
	;; [unrolled: 1-line block ×4, first 2 shown]
	v_lshrrev_b32_e32 v125, 16, v90
	v_fmac_f16_e32 v123, v14, v91
	v_fma_f16 v91, v14, v131, -v124
	v_sub_f16_e32 v112, v52, v112
	v_sub_f16_e32 v116, v133, v116
	;; [unrolled: 1-line block ×4, first 2 shown]
	v_fma_f16 v109, v109, 2.0, -v62
	v_fma_f16 v64, v64, 2.0, -v66
	v_sub_f16_e32 v119, v53, v119
	v_sub_f16_e32 v128, v115, v128
	;; [unrolled: 1-line block ×5, first 2 shown]
	v_fma_f16 v55, v55, 2.0, -v111
	v_fma_f16 v113, v113, 2.0, -v63
	;; [unrolled: 1-line block ×4, first 2 shown]
	v_sub_f16_e32 v122, v90, v122
	v_sub_f16_e32 v107, v125, v107
	;; [unrolled: 1-line block ×4, first 2 shown]
	v_fma_f16 v52, v52, 2.0, -v112
	v_fma_f16 v127, v133, 2.0, -v116
	;; [unrolled: 1-line block ×4, first 2 shown]
	v_sub_f16_e32 v64, v109, v64
	v_add_f16_e32 v66, v120, v66
	v_sub_f16_e32 v110, v62, v110
	v_fma_f16 v53, v53, 2.0, -v119
	v_fma_f16 v115, v115, 2.0, -v128
	v_fma_f16 v121, v121, 2.0, -v59
	v_fma_f16 v61, v61, 2.0, -v57
	v_sub_f16_e32 v126, v55, v126
	v_sub_f16_e32 v65, v113, v65
	v_add_f16_e32 v67, v111, v67
	v_sub_f16_e32 v114, v63, v114
	v_fma_f16 v90, v90, 2.0, -v122
	v_fma_f16 v125, v125, 2.0, -v107
	v_fma_f16 v118, v118, 2.0, -v123
	v_fma_f16 v108, v108, 2.0, -v91
	v_sub_f16_e32 v127, v52, v127
	;; [unrolled: 8-line block ×4, first 2 shown]
	v_sub_f16_e32 v108, v125, v108
	v_add_f16_e32 v91, v122, v91
	v_sub_f16_e32 v123, v107, v123
	v_fma_f16 v52, v52, 2.0, -v127
	v_fma_f16 v117, v117, 2.0, -v60
	;; [unrolled: 1-line block ×4, first 2 shown]
	v_pack_b32_f16 v54, v54, v109
	v_pack_b32_f16 v62, v120, v62
	v_fma_f16 v53, v53, 2.0, -v115
	v_fma_f16 v121, v121, 2.0, -v61
	;; [unrolled: 1-line block ×4, first 2 shown]
	v_pack_b32_f16 v64, v124, v64
	v_pack_b32_f16 v66, v66, v110
	;; [unrolled: 1-line block ×4, first 2 shown]
	v_fma_f16 v90, v90, 2.0, -v118
	v_fma_f16 v125, v125, 2.0, -v108
	;; [unrolled: 1-line block ×4, first 2 shown]
	v_pack_b32_f16 v65, v126, v65
	v_pack_b32_f16 v67, v67, v114
	v_pack_b32_f16 v52, v52, v117
	v_pack_b32_f16 v58, v112, v58
	s_barrier
	buffer_gl0_inv
	ds_write2_b32 v97, v54, v62 offset1:8
	ds_write2_b32 v97, v64, v66 offset0:16 offset1:24
	ds_write2_b32 v96, v55, v63 offset1:8
	ds_write2_b32 v96, v65, v67 offset0:16 offset1:24
	ds_write2_b32 v93, v52, v58 offset1:8
	v_pack_b32_f16 v52, v127, v60
	v_pack_b32_f16 v54, v56, v116
	;; [unrolled: 1-line block ×10, first 2 shown]
	ds_write2_b32 v93, v52, v54 offset0:16 offset1:24
	ds_write2_b32 v95, v53, v55 offset1:8
	ds_write2_b32 v95, v56, v57 offset0:16 offset1:24
	ds_write2_b32 v94, v58, v59 offset1:8
	ds_write2_b32 v94, v60, v61 offset0:16 offset1:24
	s_and_saveexec_b32 s1, s0
	s_cbranch_execz .LBB0_23
; %bb.22:
	v_mul_f16_sdwa v52, v13, v106 dst_sel:DWORD dst_unused:UNUSED_PAD src0_sel:WORD_1 src1_sel:DWORD
	v_mul_f16_sdwa v53, v12, v70 dst_sel:DWORD dst_unused:UNUSED_PAD src0_sel:WORD_1 src1_sel:DWORD
	;; [unrolled: 1-line block ×6, first 2 shown]
	v_fmac_f16_e32 v52, v13, v104
	v_fma_f16 v53, v12, v102, -v53
	v_fmac_f16_e32 v55, v12, v70
	v_fmac_f16_e32 v56, v14, v103
	v_fma_f16 v12, v13, v106, -v54
	v_fma_f16 v13, v14, v105, -v57
	v_sub_f16_e32 v14, v68, v52
	v_and_or_b32 v57, 0x13e0, v92, v89
	v_sub_f16_e32 v52, v55, v56
	v_sub_f16_e32 v12, v69, v12
	;; [unrolled: 1-line block ×3, first 2 shown]
	v_fma_f16 v54, v68, 2.0, -v14
	v_lshlrev_b32_e32 v57, 2, v57
	v_fma_f16 v55, v55, 2.0, -v52
	v_fma_f16 v56, v69, 2.0, -v12
	;; [unrolled: 1-line block ×3, first 2 shown]
	v_add_f16_e32 v13, v14, v13
	v_sub_f16_e32 v52, v12, v52
	v_sub_f16_e32 v55, v54, v55
	v_sub_f16_e32 v53, v56, v53
	v_fma_f16 v14, v14, 2.0, -v13
	v_fma_f16 v12, v12, 2.0, -v52
	;; [unrolled: 1-line block ×3, first 2 shown]
	v_pack_b32_f16 v13, v13, v52
	v_fma_f16 v56, v56, 2.0, -v53
	v_pack_b32_f16 v12, v14, v12
	v_pack_b32_f16 v14, v55, v53
	;; [unrolled: 1-line block ×3, first 2 shown]
	ds_write2_b32 v57, v54, v12 offset1:8
	ds_write2_b32 v57, v14, v13 offset0:16 offset1:24
.LBB0_23:
	s_or_b32 exec_lo, exec_lo, s1
	v_add_nc_u32_e32 v12, 0x700, v71
	s_waitcnt lgkmcnt(0)
	s_barrier
	v_add_nc_u32_e32 v56, 0x1500, v71
	buffer_gl0_inv
	v_add_nc_u32_e32 v14, 0x1c00, v71
	ds_read2_b32 v[58:59], v12 offset1:224
	v_add_nc_u32_e32 v13, 0x2a00, v71
	ds_read2_b32 v[60:61], v56 offset1:224
	;; [unrolled: 2-line block ×7, first 2 shown]
	ds_read2_b32 v[91:92], v54 offset1:224
	ds_read2_b32 v[93:94], v55 offset1:224
	ds_read_b32 v70, v71 offset:17920
	ds_read2_b32 v[95:96], v71 offset1:224
	s_waitcnt lgkmcnt(0)
	s_barrier
	buffer_gl0_inv
	s_mov_b32 s4, 0x899406f7
	s_mov_b32 s5, 0x3f2bdd2b
	v_lshrrev_b32_e32 v97, 16, v59
	v_lshrrev_b32_e32 v102, 16, v60
	v_mul_f16_sdwa v121, v1, v60 dst_sel:DWORD dst_unused:UNUSED_PAD src0_sel:WORD_1 src1_sel:DWORD
	v_lshrrev_b32_e32 v103, 16, v63
	v_mul_f16_sdwa v115, v0, v97 dst_sel:DWORD dst_unused:UNUSED_PAD src0_sel:WORD_1 src1_sel:DWORD
	;; [unrolled: 2-line block ×4, first 2 shown]
	v_lshrrev_b32_e32 v106, 16, v68
	v_fmac_f16_e32 v115, v0, v59
	v_mul_f16_sdwa v59, v0, v59 dst_sel:DWORD dst_unused:UNUSED_PAD src0_sel:WORD_1 src1_sel:DWORD
	v_mul_f16_sdwa v123, v2, v63 dst_sel:DWORD dst_unused:UNUSED_PAD src0_sel:WORD_1 src1_sel:DWORD
	v_lshrrev_b32_e32 v107, 16, v89
	v_lshrrev_b32_e32 v108, 16, v61
	v_fmac_f16_e32 v120, v1, v60
	v_fma_f16 v59, v0, v97, -v59
	v_fma_f16 v60, v1, v102, -v121
	v_fmac_f16_e32 v122, v2, v63
	v_fma_f16 v63, v2, v103, -v123
	v_mul_f16_sdwa v97, v3, v104 dst_sel:DWORD dst_unused:UNUSED_PAD src0_sel:WORD_1 src1_sel:DWORD
	v_mul_f16_sdwa v102, v3, v64 dst_sel:DWORD dst_unused:UNUSED_PAD src0_sel:WORD_1 src1_sel:DWORD
	;; [unrolled: 1-line block ×5, first 2 shown]
	v_lshrrev_b32_e32 v109, 16, v91
	v_lshrrev_b32_e32 v110, 16, v65
	v_fmac_f16_e32 v97, v3, v64
	v_fma_f16 v64, v3, v104, -v102
	v_fmac_f16_e32 v103, v32, v67
	v_fma_f16 v67, v32, v105, -v121
	v_fmac_f16_e32 v123, v33, v68
	v_mul_f16_sdwa v68, v33, v68 dst_sel:DWORD dst_unused:UNUSED_PAD src0_sel:WORD_1 src1_sel:DWORD
	v_mul_f16_sdwa v102, v0, v107 dst_sel:DWORD dst_unused:UNUSED_PAD src0_sel:WORD_1 src1_sel:DWORD
	;; [unrolled: 1-line block ×5, first 2 shown]
	v_lshrrev_b32_e32 v111, 16, v93
	v_lshrrev_b32_e32 v112, 16, v69
	v_lshrrev_b32_e32 v113, 16, v90
	v_fma_f16 v68, v33, v106, -v68
	v_fmac_f16_e32 v102, v0, v89
	v_fma_f16 v89, v0, v107, -v104
	v_fmac_f16_e32 v105, v1, v61
	v_fma_f16 v61, v1, v108, -v121
	v_mul_f16_sdwa v104, v2, v109 dst_sel:DWORD dst_unused:UNUSED_PAD src0_sel:WORD_1 src1_sel:DWORD
	v_mul_f16_sdwa v106, v2, v91 dst_sel:DWORD dst_unused:UNUSED_PAD src0_sel:WORD_1 src1_sel:DWORD
	;; [unrolled: 1-line block ×4, first 2 shown]
	v_lshrrev_b32_e32 v114, 16, v62
	v_lshrrev_b32_e32 v117, 16, v66
	v_mul_f16_sdwa v121, v32, v111 dst_sel:DWORD dst_unused:UNUSED_PAD src0_sel:WORD_1 src1_sel:DWORD
	v_fmac_f16_e32 v104, v2, v91
	v_fma_f16 v91, v2, v109, -v106
	v_fmac_f16_e32 v107, v3, v65
	v_fma_f16 v65, v3, v110, -v108
	v_mul_f16_sdwa v106, v33, v112 dst_sel:DWORD dst_unused:UNUSED_PAD src0_sel:WORD_1 src1_sel:DWORD
	v_mul_f16_sdwa v108, v33, v69 dst_sel:DWORD dst_unused:UNUSED_PAD src0_sel:WORD_1 src1_sel:DWORD
	;; [unrolled: 1-line block ×3, first 2 shown]
	v_lshrrev_b32_e32 v116, 16, v92
	v_lshrrev_b32_e32 v118, 16, v94
	;; [unrolled: 1-line block ×3, first 2 shown]
	v_fmac_f16_e32 v121, v32, v93
	v_mul_f16_sdwa v93, v32, v93 dst_sel:DWORD dst_unused:UNUSED_PAD src0_sel:WORD_1 src1_sel:DWORD
	v_mul_f16_sdwa v110, v0, v90 dst_sel:DWORD dst_unused:UNUSED_PAD src0_sel:WORD_1 src1_sel:DWORD
	v_fmac_f16_e32 v106, v33, v69
	v_fma_f16 v69, v33, v112, -v108
	v_fmac_f16_e32 v109, v0, v90
	v_mul_f16_sdwa v90, v1, v114 dst_sel:DWORD dst_unused:UNUSED_PAD src0_sel:WORD_1 src1_sel:DWORD
	v_mul_f16_sdwa v108, v1, v62 dst_sel:DWORD dst_unused:UNUSED_PAD src0_sel:WORD_1 src1_sel:DWORD
	;; [unrolled: 1-line block ×3, first 2 shown]
	v_fma_f16 v93, v32, v111, -v93
	v_fma_f16 v0, v0, v113, -v110
	v_mul_f16_sdwa v110, v2, v116 dst_sel:DWORD dst_unused:UNUSED_PAD src0_sel:WORD_1 src1_sel:DWORD
	v_mul_f16_sdwa v111, v2, v92 dst_sel:DWORD dst_unused:UNUSED_PAD src0_sel:WORD_1 src1_sel:DWORD
	v_fmac_f16_e32 v90, v1, v62
	v_fma_f16 v1, v1, v114, -v108
	v_fmac_f16_e32 v112, v3, v66
	v_mul_f16_sdwa v62, v3, v66 dst_sel:DWORD dst_unused:UNUSED_PAD src0_sel:WORD_1 src1_sel:DWORD
	v_mul_f16_sdwa v66, v32, v118 dst_sel:DWORD dst_unused:UNUSED_PAD src0_sel:WORD_1 src1_sel:DWORD
	;; [unrolled: 1-line block ×3, first 2 shown]
	v_fmac_f16_e32 v110, v2, v92
	v_fma_f16 v2, v2, v116, -v111
	v_mul_f16_sdwa v92, v32, v94 dst_sel:DWORD dst_unused:UNUSED_PAD src0_sel:WORD_1 src1_sel:DWORD
	v_mul_f16_sdwa v111, v33, v70 dst_sel:DWORD dst_unused:UNUSED_PAD src0_sel:WORD_1 src1_sel:DWORD
	v_fma_f16 v3, v3, v117, -v62
	v_fmac_f16_e32 v66, v32, v94
	v_fmac_f16_e32 v108, v33, v70
	v_add_f16_e32 v62, v115, v123
	v_add_f16_e32 v70, v59, v68
	v_sub_f16_e32 v59, v59, v68
	v_add_f16_e32 v68, v120, v103
	v_add_f16_e32 v94, v60, v67
	v_fma_f16 v32, v32, v118, -v92
	v_fma_f16 v33, v33, v119, -v111
	v_sub_f16_e32 v92, v115, v123
	v_sub_f16_e32 v103, v120, v103
	v_sub_f16_e32 v60, v60, v67
	v_add_f16_e32 v67, v122, v97
	v_add_f16_e32 v111, v63, v64
	v_sub_f16_e32 v97, v97, v122
	v_sub_f16_e32 v63, v64, v63
	v_add_f16_e32 v64, v68, v62
	v_add_f16_e32 v113, v94, v70
	v_sub_f16_e32 v114, v68, v62
	v_sub_f16_e32 v115, v94, v70
	;; [unrolled: 1-line block ×6, first 2 shown]
	v_add_f16_e32 v116, v97, v103
	v_add_f16_e32 v117, v63, v60
	v_sub_f16_e32 v118, v97, v103
	v_sub_f16_e32 v119, v63, v60
	;; [unrolled: 1-line block ×3, first 2 shown]
	v_add_f16_e32 v64, v67, v64
	v_add_f16_e32 v67, v111, v113
	v_sub_f16_e32 v60, v60, v59
	v_sub_f16_e32 v97, v92, v97
	;; [unrolled: 1-line block ×3, first 2 shown]
	v_add_f16_e32 v92, v116, v92
	v_add_f16_e32 v59, v117, v59
	;; [unrolled: 1-line block ×3, first 2 shown]
	v_add_f16_sdwa v95, v95, v67 dst_sel:DWORD dst_unused:UNUSED_PAD src0_sel:WORD_1 src1_sel:DWORD
	v_mul_f16_e32 v62, 0x3a52, v62
	v_mul_f16_e32 v70, 0x3a52, v70
	v_mul_f16_e32 v113, 0x2b26, v68
	v_mul_f16_e32 v116, 0x2b26, v94
	v_mul_f16_e32 v117, 0x3846, v118
	v_mul_f16_e32 v118, 0x3846, v119
	v_mul_f16_e32 v119, 0xbb00, v103
	v_mul_f16_e32 v120, 0xbb00, v60
	v_fmamk_f16 v64, v64, 0xbcab, v111
	v_fmamk_f16 v67, v67, 0xbcab, v95
	;; [unrolled: 1-line block ×4, first 2 shown]
	v_fma_f16 v113, v114, 0x39e0, -v113
	v_fma_f16 v116, v115, 0x39e0, -v116
	;; [unrolled: 1-line block ×4, first 2 shown]
	v_fmamk_f16 v114, v97, 0xb574, v117
	v_fmamk_f16 v115, v63, 0xb574, v118
	v_fma_f16 v97, v97, 0x3574, -v119
	v_fma_f16 v63, v63, 0x3574, -v120
	;; [unrolled: 1-line block ×4, first 2 shown]
	v_add_f16_e32 v68, v68, v64
	v_add_f16_e32 v94, v94, v67
	;; [unrolled: 1-line block ×5, first 2 shown]
	v_fmac_f16_e32 v114, 0xb70e, v92
	v_fmac_f16_e32 v115, 0xb70e, v59
	;; [unrolled: 1-line block ×4, first 2 shown]
	v_add_f16_e32 v116, v116, v67
	v_fmac_f16_e32 v103, 0xb70e, v92
	v_fmac_f16_e32 v60, 0xb70e, v59
	v_add_f16_e32 v59, v115, v68
	v_sub_f16_e32 v67, v94, v114
	v_add_f16_e32 v70, v63, v62
	v_sub_f16_e32 v92, v64, v97
	v_sub_f16_e32 v62, v62, v63
	v_add_f16_e32 v63, v97, v64
	v_sub_f16_e32 v64, v68, v115
	v_add_f16_e32 v68, v114, v94
	v_add_f16_e32 v94, v102, v106
	;; [unrolled: 1-line block ×3, first 2 shown]
	v_sub_f16_e32 v102, v102, v106
	v_sub_f16_e32 v69, v89, v69
	v_add_f16_e32 v89, v105, v121
	v_add_f16_e32 v106, v61, v93
	v_sub_f16_e32 v117, v113, v60
	v_add_f16_e32 v60, v60, v113
	v_sub_f16_e32 v105, v105, v121
	v_sub_f16_e32 v61, v61, v93
	v_add_f16_e32 v93, v104, v107
	v_add_f16_e32 v113, v91, v65
	v_sub_f16_e32 v104, v107, v104
	v_sub_f16_e32 v65, v65, v91
	v_add_f16_e32 v91, v89, v94
	v_add_f16_e32 v107, v106, v97
	;; [unrolled: 1-line block ×3, first 2 shown]
	v_sub_f16_e32 v103, v116, v103
	v_sub_f16_e32 v114, v89, v94
	;; [unrolled: 1-line block ×7, first 2 shown]
	v_add_f16_e32 v116, v104, v105
	v_add_f16_e32 v119, v65, v61
	v_sub_f16_e32 v120, v104, v105
	v_sub_f16_e32 v121, v65, v61
	;; [unrolled: 1-line block ×3, first 2 shown]
	v_add_f16_e32 v91, v93, v91
	v_add_f16_e32 v93, v113, v107
	v_sub_f16_e32 v61, v61, v69
	v_sub_f16_e32 v104, v102, v104
	;; [unrolled: 1-line block ×3, first 2 shown]
	v_add_f16_e32 v102, v116, v102
	v_add_f16_e32 v69, v119, v69
	;; [unrolled: 1-line block ×3, first 2 shown]
	v_add_f16_sdwa v96, v96, v93 dst_sel:DWORD dst_unused:UNUSED_PAD src0_sel:WORD_1 src1_sel:DWORD
	v_mul_f16_e32 v94, 0x3a52, v94
	v_mul_f16_e32 v97, 0x3a52, v97
	;; [unrolled: 1-line block ×8, first 2 shown]
	v_fmamk_f16 v91, v91, 0xbcab, v107
	v_fmamk_f16 v93, v93, 0xbcab, v96
	;; [unrolled: 1-line block ×4, first 2 shown]
	v_fma_f16 v113, v114, 0x39e0, -v113
	v_fma_f16 v116, v115, 0x39e0, -v116
	;; [unrolled: 1-line block ×4, first 2 shown]
	v_fmamk_f16 v114, v104, 0xb574, v119
	v_fmamk_f16 v115, v65, 0xb574, v120
	v_fma_f16 v104, v104, 0x3574, -v121
	v_fma_f16 v65, v65, 0x3574, -v122
	;; [unrolled: 1-line block ×3, first 2 shown]
	v_add_f16_e32 v89, v89, v91
	v_add_f16_e32 v106, v106, v93
	;; [unrolled: 1-line block ×6, first 2 shown]
	v_fmac_f16_e32 v114, 0xb70e, v102
	v_fmac_f16_e32 v65, 0xb70e, v69
	;; [unrolled: 1-line block ×3, first 2 shown]
	v_fma_f16 v61, v61, 0xbb00, -v120
	v_fmac_f16_e32 v105, 0xb70e, v102
	v_sub_f16_e32 v94, v106, v114
	v_add_f16_e32 v97, v65, v91
	v_sub_f16_e32 v102, v93, v104
	v_sub_f16_e32 v65, v91, v65
	v_add_f16_e32 v91, v104, v93
	v_add_f16_e32 v93, v114, v106
	;; [unrolled: 1-line block ×4, first 2 shown]
	v_sub_f16_e32 v108, v109, v108
	v_sub_f16_e32 v0, v0, v33
	v_add_f16_e32 v33, v90, v66
	v_add_f16_e32 v109, v1, v32
	v_fmac_f16_e32 v115, 0xb70e, v69
	v_fmac_f16_e32 v61, 0xb70e, v69
	v_sub_f16_e32 v66, v90, v66
	v_sub_f16_e32 v1, v1, v32
	v_add_f16_e32 v32, v110, v112
	v_add_f16_e32 v90, v2, v3
	v_sub_f16_e32 v110, v112, v110
	v_sub_f16_e32 v2, v3, v2
	v_add_f16_e32 v3, v33, v104
	v_add_f16_e32 v112, v109, v106
	;; [unrolled: 1-line block ×3, first 2 shown]
	v_sub_f16_e32 v119, v113, v61
	v_add_f16_e32 v120, v105, v116
	v_add_f16_e32 v61, v61, v113
	v_sub_f16_e32 v105, v116, v105
	v_sub_f16_e32 v89, v89, v115
	;; [unrolled: 1-line block ×8, first 2 shown]
	v_add_f16_e32 v115, v110, v66
	v_add_f16_e32 v116, v2, v1
	v_sub_f16_e32 v121, v110, v66
	v_sub_f16_e32 v122, v2, v1
	v_add_f16_e32 v3, v32, v3
	v_add_f16_e32 v32, v90, v112
	v_sub_f16_e32 v66, v66, v108
	v_sub_f16_e32 v1, v1, v0
	;; [unrolled: 1-line block ×4, first 2 shown]
	v_add_f16_e32 v90, v115, v108
	v_add_f16_e32 v0, v116, v0
	;; [unrolled: 1-line block ×3, first 2 shown]
	v_add_f16_sdwa v58, v58, v32 dst_sel:DWORD dst_unused:UNUSED_PAD src0_sel:WORD_1 src1_sel:DWORD
	v_mul_f16_e32 v104, 0x3a52, v104
	v_mul_f16_e32 v106, 0x3a52, v106
	;; [unrolled: 1-line block ×8, first 2 shown]
	v_fmamk_f16 v3, v3, 0xbcab, v108
	v_fmamk_f16 v32, v32, 0xbcab, v58
	;; [unrolled: 1-line block ×4, first 2 shown]
	v_fma_f16 v112, v113, 0x39e0, -v112
	v_fma_f16 v115, v114, 0x39e0, -v115
	v_fma_f16 v104, v113, 0xb9e0, -v104
	v_fma_f16 v106, v114, 0xb9e0, -v106
	v_fmamk_f16 v113, v110, 0xb574, v116
	v_fmamk_f16 v114, v2, 0xb574, v121
	v_fma_f16 v66, v66, 0xbb00, -v116
	v_fma_f16 v1, v1, 0xbb00, -v121
	;; [unrolled: 1-line block ×4, first 2 shown]
	v_pack_b32_f16 v95, v111, v95
	v_pack_b32_f16 v59, v59, v67
	v_add_f16_e32 v33, v33, v3
	v_add_f16_e32 v109, v109, v32
	v_fmac_f16_e32 v113, 0xb70e, v90
	v_fmac_f16_e32 v114, 0xb70e, v0
	v_pack_b32_f16 v67, v70, v92
	v_pack_b32_f16 v70, v117, v118
	v_add_f16_e32 v112, v112, v3
	v_add_f16_e32 v115, v115, v32
	;; [unrolled: 1-line block ×4, first 2 shown]
	v_fmac_f16_e32 v66, 0xb70e, v90
	v_fmac_f16_e32 v2, 0xb70e, v0
	;; [unrolled: 1-line block ×4, first 2 shown]
	ds_write2_b32 v99, v95, v59 offset1:32
	ds_write2_b32 v99, v67, v70 offset0:64 offset1:96
	v_pack_b32_f16 v59, v60, v103
	v_pack_b32_f16 v60, v62, v63
	v_add_f16_e32 v0, v114, v33
	v_sub_f16_e32 v90, v109, v113
	v_pack_b32_f16 v62, v64, v68
	v_add_f16_e32 v104, v2, v3
	v_sub_f16_e32 v106, v32, v110
	v_sub_f16_e32 v116, v112, v1
	v_add_f16_e32 v121, v66, v115
	v_pack_b32_f16 v63, v107, v96
	v_pack_b32_f16 v64, v69, v94
	v_add_f16_e32 v1, v1, v112
	v_sub_f16_e32 v66, v115, v66
	v_sub_f16_e32 v2, v3, v2
	v_add_f16_e32 v3, v110, v32
	v_pack_b32_f16 v67, v97, v102
	v_pack_b32_f16 v68, v119, v120
	v_sub_f16_e32 v32, v33, v114
	v_add_f16_e32 v33, v113, v109
	v_pack_b32_f16 v61, v61, v105
	v_pack_b32_f16 v65, v65, v91
	ds_write2_b32 v99, v59, v60 offset0:128 offset1:160
	ds_write_b32 v99, v62 offset:768
	ds_write2_b32 v98, v63, v64 offset1:32
	ds_write2_b32 v98, v67, v68 offset0:64 offset1:96
	ds_write2_b32 v98, v61, v65 offset0:128 offset1:160
	v_pack_b32_f16 v59, v89, v93
	v_pack_b32_f16 v58, v108, v58
	;; [unrolled: 1-line block ×8, first 2 shown]
	ds_write_b32 v98, v59 offset:768
	ds_write2_b32 v100, v58, v0 offset1:32
	ds_write2_b32 v100, v60, v61 offset0:64 offset1:96
	ds_write2_b32 v100, v1, v2 offset0:128 offset1:160
	ds_write_b32 v100, v3 offset:768
	s_waitcnt lgkmcnt(0)
	s_barrier
	buffer_gl0_inv
	ds_read2_b32 v[0:1], v12 offset1:224
	ds_read2_b32 v[2:3], v56 offset1:224
	;; [unrolled: 1-line block ×9, first 2 shown]
	ds_read_b32 v70, v71 offset:17920
	ds_read2_b32 v[89:90], v71 offset1:224
	s_waitcnt lgkmcnt(0)
	s_barrier
	buffer_gl0_inv
	v_lshrrev_b32_e32 v91, 16, v1
	v_lshrrev_b32_e32 v92, 16, v2
	;; [unrolled: 1-line block ×5, first 2 shown]
	v_mul_f16_sdwa v106, v8, v91 dst_sel:DWORD dst_unused:UNUSED_PAD src0_sel:WORD_1 src1_sel:DWORD
	v_lshrrev_b32_e32 v96, 16, v62
	v_mul_f16_sdwa v111, v9, v92 dst_sel:DWORD dst_unused:UNUSED_PAD src0_sel:WORD_1 src1_sel:DWORD
	v_mul_f16_sdwa v112, v9, v2 dst_sel:DWORD dst_unused:UNUSED_PAD src0_sel:WORD_1 src1_sel:DWORD
	;; [unrolled: 1-line block ×3, first 2 shown]
	v_fmac_f16_e32 v106, v8, v1
	v_mul_f16_sdwa v1, v8, v1 dst_sel:DWORD dst_unused:UNUSED_PAD src0_sel:WORD_1 src1_sel:DWORD
	v_mul_f16_sdwa v114, v10, v33 dst_sel:DWORD dst_unused:UNUSED_PAD src0_sel:WORD_1 src1_sel:DWORD
	v_lshrrev_b32_e32 v97, 16, v64
	v_lshrrev_b32_e32 v98, 16, v3
	v_fmac_f16_e32 v111, v9, v2
	v_fma_f16 v1, v8, v91, -v1
	v_fma_f16 v2, v9, v92, -v112
	v_fmac_f16_e32 v113, v10, v33
	v_fma_f16 v33, v10, v93, -v114
	v_mul_f16_sdwa v91, v11, v94 dst_sel:DWORD dst_unused:UNUSED_PAD src0_sel:WORD_1 src1_sel:DWORD
	v_mul_f16_sdwa v92, v11, v58 dst_sel:DWORD dst_unused:UNUSED_PAD src0_sel:WORD_1 src1_sel:DWORD
	;; [unrolled: 1-line block ×5, first 2 shown]
	v_lshrrev_b32_e32 v99, 16, v66
	v_lshrrev_b32_e32 v100, 16, v59
	v_lshrrev_b32_e32 v102, 16, v68
	v_fmac_f16_e32 v91, v11, v58
	v_fma_f16 v58, v11, v94, -v92
	v_fmac_f16_e32 v93, v36, v61
	v_fma_f16 v61, v36, v95, -v112
	v_fmac_f16_e32 v114, v37, v62
	v_mul_f16_sdwa v62, v37, v62 dst_sel:DWORD dst_unused:UNUSED_PAD src0_sel:WORD_1 src1_sel:DWORD
	v_mul_f16_sdwa v92, v8, v97 dst_sel:DWORD dst_unused:UNUSED_PAD src0_sel:WORD_1 src1_sel:DWORD
	;; [unrolled: 1-line block ×5, first 2 shown]
	v_lshrrev_b32_e32 v103, 16, v63
	v_lshrrev_b32_e32 v104, 16, v65
	v_fma_f16 v62, v37, v96, -v62
	v_fmac_f16_e32 v92, v8, v64
	v_fma_f16 v8, v8, v97, -v94
	v_fmac_f16_e32 v95, v9, v3
	v_fma_f16 v3, v9, v98, -v112
	v_mul_f16_sdwa v9, v10, v99 dst_sel:DWORD dst_unused:UNUSED_PAD src0_sel:WORD_1 src1_sel:DWORD
	v_mul_f16_sdwa v64, v10, v66 dst_sel:DWORD dst_unused:UNUSED_PAD src0_sel:WORD_1 src1_sel:DWORD
	;; [unrolled: 1-line block ×5, first 2 shown]
	v_lshrrev_b32_e32 v105, 16, v32
	v_lshrrev_b32_e32 v107, 16, v67
	;; [unrolled: 1-line block ×3, first 2 shown]
	v_fmac_f16_e32 v9, v10, v66
	v_fma_f16 v10, v10, v99, -v64
	v_fmac_f16_e32 v94, v11, v59
	v_fma_f16 v11, v11, v100, -v96
	v_fmac_f16_e32 v97, v36, v68
	v_mul_f16_sdwa v59, v36, v68 dst_sel:DWORD dst_unused:UNUSED_PAD src0_sel:WORD_1 src1_sel:DWORD
	v_mul_f16_sdwa v64, v37, v103 dst_sel:DWORD dst_unused:UNUSED_PAD src0_sel:WORD_1 src1_sel:DWORD
	;; [unrolled: 1-line block ×5, first 2 shown]
	v_lshrrev_b32_e32 v109, 16, v69
	v_lshrrev_b32_e32 v110, 16, v70
	v_fma_f16 v36, v36, v102, -v59
	v_fmac_f16_e32 v64, v37, v63
	v_fma_f16 v37, v37, v103, -v66
	v_fmac_f16_e32 v68, v4, v65
	v_fma_f16 v4, v4, v104, -v96
	v_mul_f16_sdwa v59, v5, v105 dst_sel:DWORD dst_unused:UNUSED_PAD src0_sel:WORD_1 src1_sel:DWORD
	v_mul_f16_sdwa v63, v5, v32 dst_sel:DWORD dst_unused:UNUSED_PAD src0_sel:WORD_1 src1_sel:DWORD
	;; [unrolled: 1-line block ×5, first 2 shown]
	v_fmac_f16_e32 v59, v5, v32
	v_fma_f16 v5, v5, v105, -v63
	v_fmac_f16_e32 v65, v6, v67
	v_fma_f16 v6, v6, v107, -v66
	v_fmac_f16_e32 v96, v7, v60
	v_mul_f16_sdwa v32, v7, v60 dst_sel:DWORD dst_unused:UNUSED_PAD src0_sel:WORD_1 src1_sel:DWORD
	v_mul_f16_sdwa v60, v34, v109 dst_sel:DWORD dst_unused:UNUSED_PAD src0_sel:WORD_1 src1_sel:DWORD
	;; [unrolled: 1-line block ×5, first 2 shown]
	v_fma_f16 v7, v7, v108, -v32
	v_fmac_f16_e32 v60, v34, v69
	v_fma_f16 v32, v34, v109, -v63
	v_fmac_f16_e32 v66, v35, v70
	v_fma_f16 v34, v35, v110, -v67
	v_add_f16_e32 v35, v106, v114
	v_add_f16_e32 v63, v1, v62
	v_sub_f16_e32 v1, v1, v62
	v_add_f16_e32 v62, v111, v93
	v_add_f16_e32 v69, v2, v61
	v_sub_f16_e32 v67, v106, v114
	v_sub_f16_e32 v70, v111, v93
	;; [unrolled: 1-line block ×3, first 2 shown]
	v_add_f16_e32 v61, v113, v91
	v_add_f16_e32 v93, v33, v58
	v_sub_f16_e32 v91, v91, v113
	v_sub_f16_e32 v33, v58, v33
	v_add_f16_e32 v58, v62, v35
	v_add_f16_e32 v98, v69, v63
	v_sub_f16_e32 v99, v62, v35
	v_sub_f16_e32 v100, v69, v63
	;; [unrolled: 1-line block ×6, first 2 shown]
	v_add_f16_e32 v102, v91, v70
	v_add_f16_e32 v103, v33, v2
	v_sub_f16_e32 v104, v91, v70
	v_sub_f16_e32 v105, v33, v2
	;; [unrolled: 1-line block ×3, first 2 shown]
	v_add_f16_e32 v58, v61, v58
	v_add_f16_e32 v61, v93, v98
	v_sub_f16_e32 v2, v2, v1
	v_sub_f16_e32 v91, v67, v91
	;; [unrolled: 1-line block ×3, first 2 shown]
	v_add_f16_e32 v67, v102, v67
	v_add_f16_e32 v1, v103, v1
	v_add_f16_e32 v93, v89, v58
	v_add_f16_sdwa v89, v89, v61 dst_sel:DWORD dst_unused:UNUSED_PAD src0_sel:WORD_1 src1_sel:DWORD
	v_mul_f16_e32 v35, 0x3a52, v35
	v_mul_f16_e32 v63, 0x3a52, v63
	;; [unrolled: 1-line block ×8, first 2 shown]
	v_fmamk_f16 v58, v58, 0xbcab, v93
	v_fmamk_f16 v61, v61, 0xbcab, v89
	v_fmamk_f16 v62, v62, 0x2b26, v35
	v_fmamk_f16 v69, v69, 0x2b26, v63
	v_fma_f16 v98, v99, 0x39e0, -v98
	v_fma_f16 v102, v100, 0x39e0, -v102
	;; [unrolled: 1-line block ×4, first 2 shown]
	v_fmamk_f16 v99, v91, 0xb574, v103
	v_fmamk_f16 v100, v33, 0xb574, v104
	v_fma_f16 v91, v91, 0x3574, -v105
	v_fma_f16 v33, v33, 0x3574, -v106
	;; [unrolled: 1-line block ×4, first 2 shown]
	v_add_f16_e32 v62, v62, v58
	v_add_f16_e32 v69, v69, v61
	v_add_f16_e32 v98, v98, v58
	v_add_f16_e32 v35, v35, v58
	v_add_f16_e32 v58, v63, v61
	v_fmac_f16_e32 v99, 0xb70e, v67
	v_fmac_f16_e32 v100, 0xb70e, v1
	;; [unrolled: 1-line block ×4, first 2 shown]
	v_add_f16_e32 v102, v102, v61
	v_fmac_f16_e32 v70, 0xb70e, v67
	v_fmac_f16_e32 v2, 0xb70e, v1
	v_add_f16_e32 v1, v100, v62
	v_sub_f16_e32 v61, v69, v99
	v_add_f16_e32 v63, v33, v35
	v_sub_f16_e32 v67, v58, v91
	v_sub_f16_e32 v33, v35, v33
	v_add_f16_e32 v35, v91, v58
	v_sub_f16_e32 v58, v62, v100
	v_add_f16_e32 v62, v99, v69
	v_add_f16_e32 v69, v92, v64
	;; [unrolled: 1-line block ×3, first 2 shown]
	v_sub_f16_e32 v64, v92, v64
	v_sub_f16_e32 v8, v8, v37
	v_add_f16_e32 v37, v95, v97
	v_add_f16_e32 v92, v3, v36
	v_sub_f16_e32 v95, v95, v97
	v_sub_f16_e32 v3, v3, v36
	v_add_f16_e32 v36, v9, v94
	v_add_f16_e32 v97, v10, v11
	;; [unrolled: 4-line block ×3, first 2 shown]
	v_sub_f16_e32 v103, v98, v2
	v_add_f16_e32 v104, v70, v102
	v_add_f16_e32 v2, v2, v98
	v_sub_f16_e32 v70, v102, v70
	v_sub_f16_e32 v98, v37, v69
	;; [unrolled: 1-line block ×7, first 2 shown]
	v_add_f16_e32 v100, v9, v95
	v_add_f16_e32 v102, v10, v3
	v_sub_f16_e32 v105, v9, v95
	v_sub_f16_e32 v106, v10, v3
	;; [unrolled: 1-line block ×3, first 2 shown]
	v_add_f16_e32 v11, v36, v11
	v_add_f16_e32 v36, v97, v94
	v_sub_f16_e32 v3, v3, v8
	v_sub_f16_e32 v9, v64, v9
	;; [unrolled: 1-line block ×3, first 2 shown]
	v_add_f16_e32 v64, v100, v64
	v_add_f16_e32 v8, v102, v8
	;; [unrolled: 1-line block ×3, first 2 shown]
	v_add_f16_sdwa v90, v90, v36 dst_sel:DWORD dst_unused:UNUSED_PAD src0_sel:WORD_1 src1_sel:DWORD
	v_mul_f16_e32 v69, 0x3a52, v69
	v_mul_f16_e32 v91, 0x3a52, v91
	;; [unrolled: 1-line block ×8, first 2 shown]
	v_fmamk_f16 v11, v11, 0xbcab, v94
	v_fmamk_f16 v36, v36, 0xbcab, v90
	;; [unrolled: 1-line block ×4, first 2 shown]
	v_fma_f16 v97, v98, 0x39e0, -v97
	v_fma_f16 v100, v99, 0x39e0, -v100
	;; [unrolled: 1-line block ×4, first 2 shown]
	v_fmamk_f16 v98, v9, 0xb574, v102
	v_fmamk_f16 v99, v10, 0xb574, v105
	v_fma_f16 v9, v9, 0x3574, -v106
	v_fma_f16 v10, v10, 0x3574, -v107
	;; [unrolled: 1-line block ×4, first 2 shown]
	v_add_f16_e32 v37, v37, v11
	v_add_f16_e32 v92, v92, v36
	;; [unrolled: 1-line block ×6, first 2 shown]
	v_fmac_f16_e32 v98, 0xb70e, v64
	v_fmac_f16_e32 v99, 0xb70e, v8
	;; [unrolled: 1-line block ×6, first 2 shown]
	v_add_f16_e32 v8, v99, v37
	v_sub_f16_e32 v64, v92, v98
	v_add_f16_e32 v69, v10, v11
	v_sub_f16_e32 v91, v36, v9
	v_sub_f16_e32 v10, v11, v10
	v_add_f16_e32 v9, v9, v36
	v_sub_f16_e32 v11, v37, v99
	v_add_f16_e32 v36, v98, v92
	v_add_f16_e32 v37, v68, v66
	;; [unrolled: 1-line block ×3, first 2 shown]
	v_sub_f16_e32 v66, v68, v66
	v_sub_f16_e32 v4, v4, v34
	v_add_f16_e32 v34, v59, v60
	v_add_f16_e32 v68, v5, v32
	v_sub_f16_e32 v59, v59, v60
	v_sub_f16_e32 v5, v5, v32
	v_add_f16_e32 v32, v65, v96
	v_add_f16_e32 v60, v6, v7
	;; [unrolled: 4-line block ×3, first 2 shown]
	v_sub_f16_e32 v102, v97, v3
	v_add_f16_e32 v105, v95, v100
	v_add_f16_e32 v3, v3, v97
	v_sub_f16_e32 v95, v100, v95
	v_sub_f16_e32 v97, v34, v37
	;; [unrolled: 1-line block ×7, first 2 shown]
	v_add_f16_e32 v99, v65, v59
	v_add_f16_e32 v100, v6, v5
	v_sub_f16_e32 v106, v65, v59
	v_sub_f16_e32 v107, v6, v5
	;; [unrolled: 1-line block ×3, first 2 shown]
	v_add_f16_e32 v7, v32, v7
	v_add_f16_e32 v32, v60, v96
	v_sub_f16_e32 v5, v5, v4
	v_sub_f16_e32 v65, v66, v65
	;; [unrolled: 1-line block ×3, first 2 shown]
	v_add_f16_e32 v60, v99, v66
	v_add_f16_e32 v4, v100, v4
	;; [unrolled: 1-line block ×3, first 2 shown]
	v_add_f16_sdwa v0, v0, v32 dst_sel:DWORD dst_unused:UNUSED_PAD src0_sel:WORD_1 src1_sel:DWORD
	v_mul_f16_e32 v37, 0x3a52, v37
	v_mul_f16_e32 v92, 0x3a52, v92
	;; [unrolled: 1-line block ×8, first 2 shown]
	v_fmamk_f16 v7, v7, 0xbcab, v66
	v_fmamk_f16 v32, v32, 0xbcab, v0
	;; [unrolled: 1-line block ×4, first 2 shown]
	v_fma_f16 v96, v97, 0x39e0, -v96
	v_fma_f16 v99, v98, 0x39e0, -v99
	;; [unrolled: 1-line block ×4, first 2 shown]
	v_fmamk_f16 v97, v65, 0xb574, v100
	v_fmamk_f16 v98, v6, 0xb574, v106
	v_fma_f16 v65, v65, 0x3574, -v107
	v_fma_f16 v6, v6, 0x3574, -v108
	;; [unrolled: 1-line block ×4, first 2 shown]
	v_add_f16_e32 v34, v34, v7
	v_add_f16_e32 v68, v68, v32
	;; [unrolled: 1-line block ×6, first 2 shown]
	v_fmac_f16_e32 v98, 0xb70e, v4
	v_fmac_f16_e32 v6, 0xb70e, v4
	;; [unrolled: 1-line block ×6, first 2 shown]
	v_add_f16_e32 v4, v98, v34
	v_add_f16_e32 v60, v6, v7
	v_sub_f16_e32 v92, v32, v65
	v_sub_f16_e32 v6, v7, v6
	v_add_f16_e32 v7, v65, v32
	v_sub_f16_e32 v32, v34, v98
	v_pack_b32_f16 v34, v93, v89
	v_pack_b32_f16 v1, v1, v61
	v_sub_f16_e32 v37, v68, v97
	v_pack_b32_f16 v2, v2, v70
	v_pack_b32_f16 v33, v33, v35
	v_sub_f16_e32 v100, v96, v5
	ds_write2_b32 v71, v34, v1 offset1:224
	v_pack_b32_f16 v1, v63, v67
	v_pack_b32_f16 v34, v103, v104
	v_add_f16_e32 v106, v59, v99
	v_pack_b32_f16 v35, v58, v62
	v_pack_b32_f16 v58, v94, v90
	v_add_f16_e32 v5, v5, v96
	v_sub_f16_e32 v59, v99, v59
	v_pack_b32_f16 v8, v8, v64
	v_pack_b32_f16 v62, v69, v91
	v_add_f16_e32 v61, v97, v68
	v_pack_b32_f16 v63, v102, v105
	v_pack_b32_f16 v3, v3, v95
	ds_write2_b32 v12, v1, v34 offset1:224
	ds_write2_b32 v53, v2, v33 offset1:224
	;; [unrolled: 1-line block ×5, first 2 shown]
	v_pack_b32_f16 v1, v10, v9
	v_pack_b32_f16 v2, v11, v36
	;; [unrolled: 1-line block ×4, first 2 shown]
	v_add_nc_u32_e32 v4, 0x3100, v101
	v_pack_b32_f16 v8, v60, v92
	v_pack_b32_f16 v9, v100, v106
	v_add_nc_u32_e32 v10, 0x3800, v101
	v_pack_b32_f16 v5, v5, v59
	v_pack_b32_f16 v6, v6, v7
	v_add_nc_u32_e32 v7, 0x3f00, v101
	v_pack_b32_f16 v11, v32, v61
	ds_write2_b32 v13, v1, v2 offset1:224
	ds_write2_b32 v4, v0, v3 offset1:224
	;; [unrolled: 1-line block ×4, first 2 shown]
	ds_write_b32 v101, v11 offset:17920
	s_waitcnt lgkmcnt(0)
	s_barrier
	buffer_gl0_inv
	ds_read2_b32 v[0:1], v71 offset1:224
	ds_read2_b32 v[2:3], v56 offset1:224
	;; [unrolled: 1-line block ×10, first 2 shown]
	ds_read_b32 v61, v71 offset:17920
	s_waitcnt lgkmcnt(10)
	v_lshrrev_b32_e32 v58, 16, v0
	s_waitcnt lgkmcnt(9)
	v_lshrrev_b32_e32 v59, 16, v3
	s_waitcnt lgkmcnt(8)
	v_lshrrev_b32_e32 v60, 16, v4
	s_waitcnt lgkmcnt(7)
	v_lshrrev_b32_e32 v63, 16, v6
	v_mul_f16_sdwa v98, v50, v3 dst_sel:DWORD dst_unused:UNUSED_PAD src0_sel:WORD_1 src1_sel:DWORD
	v_lshrrev_b32_e32 v64, 16, v5
	v_mul_f16_sdwa v96, v50, v59 dst_sel:DWORD dst_unused:UNUSED_PAD src0_sel:WORD_1 src1_sel:DWORD
	v_mul_f16_sdwa v100, v51, v60 dst_sel:DWORD dst_unused:UNUSED_PAD src0_sel:WORD_1 src1_sel:DWORD
	v_lshrrev_b32_e32 v66, 16, v7
	s_waitcnt lgkmcnt(5)
	v_lshrrev_b32_e32 v67, 16, v10
	s_waitcnt lgkmcnt(4)
	v_lshrrev_b32_e32 v69, 16, v32
	v_fmac_f16_e32 v96, v50, v3
	v_mul_f16_sdwa v3, v51, v4 dst_sel:DWORD dst_unused:UNUSED_PAD src0_sel:WORD_1 src1_sel:DWORD
	v_fma_f16 v50, v50, v59, -v98
	v_mul_f16_sdwa v59, v48, v63 dst_sel:DWORD dst_unused:UNUSED_PAD src0_sel:WORD_1 src1_sel:DWORD
	v_fmac_f16_e32 v100, v51, v4
	v_mul_f16_sdwa v4, v48, v6 dst_sel:DWORD dst_unused:UNUSED_PAD src0_sel:WORD_1 src1_sel:DWORD
	v_fma_f16 v3, v51, v60, -v3
	v_mul_f16_sdwa v51, v49, v64 dst_sel:DWORD dst_unused:UNUSED_PAD src0_sel:WORD_1 src1_sel:DWORD
	;; [unrolled: 4-line block ×4, first 2 shown]
	v_lshrrev_b32_e32 v70, 16, v11
	v_lshrrev_b32_e32 v90, 16, v33
	v_fmac_f16_e32 v48, v46, v7
	v_mul_f16_sdwa v7, v47, v10 dst_sel:DWORD dst_unused:UNUSED_PAD src0_sel:WORD_1 src1_sel:DWORD
	v_fma_f16 v5, v46, v66, -v5
	v_mul_f16_sdwa v46, v42, v69 dst_sel:DWORD dst_unused:UNUSED_PAD src0_sel:WORD_1 src1_sel:DWORD
	v_fmac_f16_e32 v49, v47, v10
	v_mul_f16_sdwa v10, v42, v32 dst_sel:DWORD dst_unused:UNUSED_PAD src0_sel:WORD_1 src1_sel:DWORD
	s_waitcnt lgkmcnt(2)
	v_lshrrev_b32_e32 v91, 16, v36
	v_fma_f16 v7, v47, v67, -v7
	v_mul_f16_sdwa v47, v43, v70 dst_sel:DWORD dst_unused:UNUSED_PAD src0_sel:WORD_1 src1_sel:DWORD
	v_fmac_f16_e32 v46, v42, v32
	v_mul_f16_sdwa v32, v43, v11 dst_sel:DWORD dst_unused:UNUSED_PAD src0_sel:WORD_1 src1_sel:DWORD
	v_fma_f16 v10, v42, v69, -v10
	v_mul_f16_sdwa v42, v38, v90 dst_sel:DWORD dst_unused:UNUSED_PAD src0_sel:WORD_1 src1_sel:DWORD
	s_waitcnt lgkmcnt(1)
	v_lshrrev_b32_e32 v93, 16, v56
	v_lshrrev_b32_e32 v94, 16, v37
	v_fmac_f16_e32 v47, v43, v11
	v_mul_f16_sdwa v11, v38, v33 dst_sel:DWORD dst_unused:UNUSED_PAD src0_sel:WORD_1 src1_sel:DWORD
	v_fma_f16 v32, v43, v70, -v32
	v_mul_f16_sdwa v43, v39, v91 dst_sel:DWORD dst_unused:UNUSED_PAD src0_sel:WORD_1 src1_sel:DWORD
	v_fmac_f16_e32 v42, v38, v33
	v_mul_f16_sdwa v33, v39, v36 dst_sel:DWORD dst_unused:UNUSED_PAD src0_sel:WORD_1 src1_sel:DWORD
	v_lshrrev_b32_e32 v97, 16, v57
	v_fma_f16 v11, v38, v90, -v11
	v_mul_f16_sdwa v38, v44, v93 dst_sel:DWORD dst_unused:UNUSED_PAD src0_sel:WORD_1 src1_sel:DWORD
	v_fmac_f16_e32 v43, v39, v36
	v_mul_f16_sdwa v36, v44, v56 dst_sel:DWORD dst_unused:UNUSED_PAD src0_sel:WORD_1 src1_sel:DWORD
	v_fma_f16 v33, v39, v91, -v33
	v_mul_f16_sdwa v39, v45, v94 dst_sel:DWORD dst_unused:UNUSED_PAD src0_sel:WORD_1 src1_sel:DWORD
	s_waitcnt lgkmcnt(0)
	v_lshrrev_b32_e32 v99, 16, v61
	v_fmac_f16_e32 v38, v44, v56
	v_mul_f16_sdwa v56, v45, v37 dst_sel:DWORD dst_unused:UNUSED_PAD src0_sel:WORD_1 src1_sel:DWORD
	v_fma_f16 v36, v44, v93, -v36
	v_mul_f16_sdwa v44, v40, v97 dst_sel:DWORD dst_unused:UNUSED_PAD src0_sel:WORD_1 src1_sel:DWORD
	v_fmac_f16_e32 v39, v45, v37
	v_mul_f16_sdwa v37, v40, v57 dst_sel:DWORD dst_unused:UNUSED_PAD src0_sel:WORD_1 src1_sel:DWORD
	v_fma_f16 v45, v45, v94, -v56
	v_mul_f16_sdwa v56, v41, v99 dst_sel:DWORD dst_unused:UNUSED_PAD src0_sel:WORD_1 src1_sel:DWORD
	v_fmac_f16_e32 v44, v40, v57
	v_mul_f16_sdwa v57, v41, v61 dst_sel:DWORD dst_unused:UNUSED_PAD src0_sel:WORD_1 src1_sel:DWORD
	v_fma_f16 v37, v40, v97, -v37
	v_add_f16_e32 v40, v96, v100
	v_fmac_f16_e32 v56, v41, v61
	v_add_f16_e32 v60, v0, v96
	v_fma_f16 v41, v41, v99, -v57
	v_add_f16_e32 v57, v50, v3
	v_fma_f16 v0, -0.5, v40, v0
	v_sub_f16_e32 v40, v50, v3
	v_lshrrev_b32_e32 v62, 16, v1
	v_add_f16_e32 v50, v58, v50
	v_fmac_f16_e32 v58, -0.5, v57
	v_sub_f16_e32 v57, v96, v100
	v_fmamk_f16 v61, v40, 0xbaee, v0
	v_fmac_f16_e32 v0, 0x3aee, v40
	v_add_f16_e32 v40, v59, v51
	v_add_f16_e32 v3, v50, v3
	v_fmamk_f16 v50, v57, 0x3aee, v58
	v_add_f16_e32 v63, v1, v59
	v_fmac_f16_e32 v58, 0xbaee, v57
	v_add_f16_e32 v57, v4, v6
	v_fmac_f16_e32 v1, -0.5, v40
	v_sub_f16_e32 v40, v4, v6
	v_add_f16_e32 v4, v62, v4
	v_lshrrev_b32_e32 v65, 16, v8
	v_add_f16_e32 v63, v63, v51
	v_fmac_f16_e32 v62, -0.5, v57
	v_sub_f16_e32 v51, v59, v51
	v_add_f16_e32 v4, v4, v6
	v_add_f16_e32 v6, v48, v49
	v_fmamk_f16 v57, v40, 0xbaee, v1
	v_fmac_f16_e32 v1, 0x3aee, v40
	v_fmamk_f16 v40, v51, 0x3aee, v62
	v_add_f16_e32 v59, v8, v48
	v_fmac_f16_e32 v62, 0xbaee, v51
	v_add_f16_e32 v51, v5, v7
	v_fma_f16 v6, -0.5, v6, v8
	v_sub_f16_e32 v8, v5, v7
	v_add_f16_e32 v5, v65, v5
	v_lshrrev_b32_e32 v68, 16, v9
	v_fmac_f16_e32 v65, -0.5, v51
	v_sub_f16_e32 v48, v48, v49
	v_add_f16_e32 v59, v59, v49
	v_add_f16_e32 v5, v5, v7
	;; [unrolled: 1-line block ×3, first 2 shown]
	v_fmamk_f16 v49, v8, 0xbaee, v6
	v_fmac_f16_e32 v6, 0x3aee, v8
	v_fmamk_f16 v8, v48, 0x3aee, v65
	v_add_f16_e32 v51, v9, v46
	v_fmac_f16_e32 v65, 0xbaee, v48
	v_add_f16_e32 v48, v10, v32
	v_fmac_f16_e32 v9, -0.5, v7
	v_sub_f16_e32 v7, v10, v32
	v_add_f16_e32 v10, v68, v10
	v_lshrrev_b32_e32 v89, 16, v34
	v_add_f16_e32 v51, v51, v47
	v_fmac_f16_e32 v68, -0.5, v48
	v_sub_f16_e32 v46, v46, v47
	v_fmamk_f16 v47, v7, 0xbaee, v9
	v_fmac_f16_e32 v9, 0x3aee, v7
	v_add_f16_e32 v7, v10, v32
	v_add_f16_e32 v10, v42, v43
	v_fmamk_f16 v32, v46, 0x3aee, v68
	v_add_f16_e32 v48, v34, v42
	v_fmac_f16_e32 v68, 0xbaee, v46
	v_add_f16_e32 v46, v11, v33
	v_fma_f16 v10, -0.5, v10, v34
	v_sub_f16_e32 v34, v11, v33
	v_add_f16_e32 v11, v89, v11
	v_lshrrev_b32_e32 v92, 16, v35
	v_fmac_f16_e32 v89, -0.5, v46
	v_sub_f16_e32 v42, v42, v43
	v_add_f16_e32 v48, v48, v43
	v_add_f16_e32 v11, v11, v33
	;; [unrolled: 1-line block ×3, first 2 shown]
	v_fmamk_f16 v43, v34, 0xbaee, v10
	v_fmac_f16_e32 v10, 0x3aee, v34
	v_fmamk_f16 v34, v42, 0x3aee, v89
	v_add_f16_e32 v46, v35, v38
	v_fmac_f16_e32 v89, 0xbaee, v42
	v_add_f16_e32 v42, v36, v45
	v_fmac_f16_e32 v35, -0.5, v33
	v_sub_f16_e32 v33, v36, v45
	v_add_f16_e32 v36, v92, v36
	v_lshrrev_b32_e32 v95, 16, v2
	v_add_f16_e32 v46, v46, v39
	v_fmac_f16_e32 v92, -0.5, v42
	v_sub_f16_e32 v38, v38, v39
	v_fmamk_f16 v39, v33, 0xbaee, v35
	v_fmac_f16_e32 v35, 0x3aee, v33
	v_add_f16_e32 v33, v36, v45
	v_add_f16_e32 v36, v44, v56
	v_fmamk_f16 v42, v38, 0x3aee, v92
	v_fmac_f16_e32 v92, 0xbaee, v38
	v_add_f16_e32 v38, v37, v41
	v_add_f16_e32 v45, v2, v44
	v_fmac_f16_e32 v2, -0.5, v36
	v_sub_f16_e32 v36, v37, v41
	v_add_f16_e32 v37, v95, v37
	v_add_f16_e32 v60, v60, v100
	v_fmac_f16_e32 v95, -0.5, v38
	v_sub_f16_e32 v38, v44, v56
	v_add_f16_e32 v44, v45, v56
	v_fmamk_f16 v45, v36, 0xbaee, v2
	v_fmac_f16_e32 v2, 0x3aee, v36
	v_add_f16_e32 v36, v37, v41
	v_pack_b32_f16 v41, v61, v50
	v_pack_b32_f16 v0, v0, v58
	;; [unrolled: 1-line block ×5, first 2 shown]
	ds_write_b32 v71, v41 offset:6272
	ds_write_b32 v71, v0 offset:12544
	ds_write2_b32 v71, v3, v4 offset1:224
	v_pack_b32_f16 v0, v57, v40
	v_pack_b32_f16 v3, v49, v8
	ds_write_b32 v71, v1 offset:13440
	v_pack_b32_f16 v1, v59, v5
	v_pack_b32_f16 v5, v51, v7
	;; [unrolled: 1-line block ×4, first 2 shown]
	v_fmamk_f16 v37, v38, 0x3aee, v95
	v_pack_b32_f16 v7, v47, v32
	v_pack_b32_f16 v8, v43, v34
	v_fmac_f16_e32 v95, 0xbaee, v38
	ds_write2_b32 v14, v0, v3 offset1:224
	ds_write2_b32 v12, v1, v5 offset1:224
	;; [unrolled: 1-line block ×3, first 2 shown]
	v_pack_b32_f16 v0, v48, v11
	v_pack_b32_f16 v3, v46, v33
	;; [unrolled: 1-line block ×5, first 2 shown]
	ds_write2_b32 v54, v7, v8 offset1:224
	v_pack_b32_f16 v4, v39, v42
	v_pack_b32_f16 v7, v45, v37
	;; [unrolled: 1-line block ×3, first 2 shown]
	ds_write2_b32 v53, v0, v3 offset1:224
	ds_write2_b32 v52, v1, v5 offset1:224
	ds_write_b32 v71, v6 offset:5376
	ds_write2_b32 v13, v4, v7 offset1:224
	ds_write_b32 v71, v2 offset:17920
	s_waitcnt lgkmcnt(0)
	s_barrier
	buffer_gl0_inv
	ds_read2_b32 v[11:12], v71 offset1:224
	s_waitcnt lgkmcnt(0)
	v_lshrrev_b32_e32 v2, 16, v11
	v_mul_f16_sdwa v3, v87, v11 dst_sel:DWORD dst_unused:UNUSED_PAD src0_sel:WORD_1 src1_sel:DWORD
	v_mul_f16_sdwa v0, v87, v2 dst_sel:DWORD dst_unused:UNUSED_PAD src0_sel:WORD_1 src1_sel:DWORD
	v_fma_f16 v2, v87, v2, -v3
	v_fmac_f16_e32 v0, v87, v11
	v_cvt_f32_f16_e32 v2, v2
	v_cvt_f32_f16_e32 v0, v0
	v_cvt_f64_f32_e32 v[2:3], v2
	v_cvt_f64_f32_e32 v[0:1], v0
	v_mul_f64 v[6:7], v[2:3], s[4:5]
	v_mul_f64 v[4:5], v[0:1], s[4:5]
	v_add_nc_u32_e32 v1, 0x900, v71
	ds_read2_b32 v[1:2], v1 offset0:12 offset1:236
	v_and_or_b32 v6, 0x1ff, v7, v6
	v_lshrrev_b32_e32 v9, 8, v7
	v_bfe_u32 v11, v7, 20, 11
	v_and_or_b32 v0, 0x1ff, v5, v4
	v_lshrrev_b32_e32 v3, 8, v5
	v_bfe_u32 v4, v5, 20, 11
	v_lshrrev_b32_e32 v5, 16, v5
	s_waitcnt lgkmcnt(0)
	v_lshrrev_b32_e32 v13, 16, v1
	v_cmp_ne_u32_e64 s0, 0, v0
	v_add_nc_u32_e32 v14, 0xfffffc10, v4
	v_cndmask_b32_e64 v0, 0, 1, s0
	v_cmp_ne_u32_e64 s0, 0, v6
	v_and_or_b32 v10, 0xffe, v3, v0
	v_sub_nc_u32_e32 v0, 0x3f1, v4
	v_cndmask_b32_e64 v6, 0, 1, s0
	v_or_b32_e32 v3, 0x1000, v10
	v_med3_i32 v0, v0, 0, 13
	v_and_or_b32 v6, 0xffe, v9, v6
	v_sub_nc_u32_e32 v9, 0x3f1, v11
	v_add_nc_u32_e32 v11, 0xfffffc10, v11
	v_lshrrev_b32_e32 v8, v0, v3
	v_or_b32_e32 v32, 0x1000, v6
	v_med3_i32 v4, v9, 0, 13
	v_cmp_gt_i32_e64 s2, 1, v11
	v_lshlrev_b32_e32 v0, v0, v8
	v_lshrrev_b32_e32 v33, v4, v32
	v_cmp_ne_u32_e64 s0, v0, v3
	v_mul_f16_sdwa v3, v88, v13 dst_sel:DWORD dst_unused:UNUSED_PAD src0_sel:WORD_1 src1_sel:DWORD
	v_cndmask_b32_e64 v0, 0, 1, s0
	v_fmac_f16_e32 v3, v88, v1
	v_cmp_gt_i32_e64 s0, 1, v14
	v_mul_f16_sdwa v1, v88, v1 dst_sel:DWORD dst_unused:UNUSED_PAD src0_sel:WORD_1 src1_sel:DWORD
	v_or_b32_e32 v0, v8, v0
	v_lshl_or_b32 v8, v14, 12, v10
	v_cvt_f32_f16_e32 v3, v3
	v_fma_f16 v1, v88, v13, -v1
	v_cndmask_b32_e64 v34, v8, v0, s0
	v_lshlrev_b32_e32 v0, v4, v33
	v_cvt_f64_f32_e32 v[3:4], v3
	v_mad_u64_u32 v[8:9], null, s10, v31, 0
	v_and_b32_e32 v35, 7, v34
	v_cmp_ne_u32_e64 s0, v0, v32
	v_cvt_f32_f16_e32 v1, v1
	v_cmp_eq_u32_e64 s1, 3, v35
	v_cndmask_b32_e64 v0, 0, 1, s0
	v_cmp_lt_i32_e64 s0, 5, v35
	v_or_b32_e32 v32, v33, v0
	v_lshl_or_b32 v33, v11, 12, v6
	v_mov_b32_e32 v0, v9
	v_lshrrev_b32_e32 v9, 2, v34
	s_or_b32 s0, s1, s0
	v_cndmask_b32_e64 v32, v33, v32, s2
	v_cmp_eq_u32_e64 s2, 0x40f, v14
	v_add_co_ci_u32_e64 v33, s0, 0, v9, s0
	v_cmp_ne_u32_e64 s0, 0, v10
	v_and_b32_e32 v35, 7, v32
	v_mul_f64 v[9:10], v[3:4], s[4:5]
	v_cndmask_b32_e64 v34, 0, 1, s0
	v_cmp_gt_i32_e64 s0, 31, v14
	v_cmp_eq_u32_e64 s1, 3, v35
	v_lshrrev_b32_e32 v14, 2, v32
	v_add_nc_u32_e32 v32, 0x1200, v71
	v_lshl_or_b32 v4, v34, 9, 0x7c00
	v_cndmask_b32_e64 v3, 0x7c00, v33, s0
	v_cmp_lt_i32_e64 s0, 5, v35
	v_cndmask_b32_e64 v13, v3, v4, s2
	s_or_b32 s0, s1, s0
	v_cvt_f64_f32_e32 v[3:4], v1
	v_add_co_ci_u32_e64 v14, s0, 0, v14, s0
	v_cmp_ne_u32_e64 s0, 0, v6
	v_mad_u64_u32 v[0:1], null, s11, v31, v[0:1]
	v_and_or_b32 v31, 0x8000, v5, v13
	v_and_or_b32 v9, 0x1ff, v10, v9
	v_cndmask_b32_e64 v6, 0, 1, s0
	v_cmp_gt_i32_e64 s0, 31, v11
	v_lshrrev_b32_e32 v33, 8, v10
	v_bfe_u32 v34, v10, 20, 11
	v_and_b32_e32 v31, 0xffff, v31
	v_lshl_or_b32 v13, v6, 9, 0x7c00
	v_cndmask_b32_e64 v1, 0x7c00, v14, s0
	v_cmp_eq_u32_e64 s0, 0x40f, v11
	v_mad_u64_u32 v[5:6], null, s8, v85, 0
	v_cndmask_b32_e64 v11, v1, v13, s0
	v_cmp_ne_u32_e64 s0, 0, v9
	v_mul_f64 v[13:14], v[3:4], s[4:5]
	ds_read2_b32 v[3:4], v32 offset0:24 offset1:248
	v_mov_b32_e32 v1, v6
	v_lshrrev_b32_e32 v32, 16, v7
	v_cndmask_b32_e64 v9, 0, 1, s0
	v_mad_u64_u32 v[6:7], null, s9, v85, v[1:2]
	v_and_or_b32 v33, 0xffe, v33, v9
	v_sub_nc_u32_e32 v9, 0x3f1, v34
	v_and_or_b32 v11, 0x8000, v32, v11
	v_or_b32_e32 v7, 0x1000, v33
	v_med3_i32 v1, v9, 0, 13
	v_mov_b32_e32 v9, v0
	v_lshl_or_b32 v11, v11, 16, v31
	v_lshlrev_b64 v[5:6], 2, v[5:6]
	v_lshrrev_b32_e32 v32, v1, v7
	v_bfe_u32 v35, v14, 20, 11
	v_lshlrev_b32_e32 v31, v1, v32
	v_lshlrev_b64 v[0:1], 2, v[8:9]
	v_and_or_b32 v8, 0x1ff, v14, v13
	s_waitcnt lgkmcnt(0)
	v_lshrrev_b32_e32 v9, 16, v3
	v_add_nc_u32_e32 v13, 0xfffffc10, v34
	v_cmp_ne_u32_e64 s0, v31, v7
	v_lshrrev_b32_e32 v34, 8, v14
	v_lshrrev_b32_e32 v14, 16, v14
	v_mul_f16_sdwa v31, v86, v9 dst_sel:DWORD dst_unused:UNUSED_PAD src0_sel:WORD_1 src1_sel:DWORD
	v_cndmask_b32_e64 v7, 0, 1, s0
	v_cmp_ne_u32_e64 s0, 0, v8
	v_fmac_f16_e32 v31, v86, v3
	v_mul_f16_sdwa v3, v86, v3 dst_sel:DWORD dst_unused:UNUSED_PAD src0_sel:WORD_1 src1_sel:DWORD
	v_or_b32_e32 v7, v32, v7
	v_cndmask_b32_e64 v8, 0, 1, s0
	v_lshl_or_b32 v32, v13, 12, v33
	v_cvt_f32_f16_e32 v31, v31
	v_cmp_gt_i32_e64 s0, 1, v13
	v_and_or_b32 v34, 0xffe, v34, v8
	v_sub_nc_u32_e32 v8, 0x3f1, v35
	v_add_nc_u32_e32 v35, 0xfffffc10, v35
	v_cndmask_b32_e64 v32, v32, v7, s0
	v_add_co_u32 v0, s0, s12, v0
	v_or_b32_e32 v36, 0x1000, v34
	v_med3_i32 v37, v8, 0, 13
	v_cvt_f64_f32_e32 v[7:8], v31
	v_add_co_ci_u32_e64 v1, s0, s13, v1, s0
	v_and_b32_e32 v31, 7, v32
	v_lshrrev_b32_e32 v38, v37, v36
	v_add_co_u32 v5, s0, v0, v5
	v_add_co_ci_u32_e64 v6, s0, v1, v6, s0
	v_lshlrev_b32_e32 v0, v37, v38
	v_cmp_lt_i32_e64 s0, 5, v31
	v_cmp_eq_u32_e64 s1, 3, v31
	v_fma_f16 v1, v86, v9, -v3
	v_lshrrev_b32_e32 v3, 2, v32
	v_cmp_ne_u32_e64 s2, v0, v36
	v_add_nc_u32_e32 v9, 0x1b80, v71
	s_or_b32 s0, s1, s0
	v_cvt_f32_f16_e32 v1, v1
	v_add_co_ci_u32_e64 v3, s0, 0, v3, s0
	v_cndmask_b32_e64 v0, 0, 1, s2
	v_cmp_ne_u32_e64 s0, 0, v33
	v_mul_f64 v[31:32], v[7:8], s[4:5]
	v_cvt_f64_f32_e32 v[7:8], v1
	v_lshl_or_b32 v1, v35, 12, v34
	v_or_b32_e32 v0, v38, v0
	v_cndmask_b32_e64 v33, 0, 1, s0
	v_cmp_gt_i32_e64 s0, 1, v35
	global_store_dword v[5:6], v11, off
	v_lshrrev_b32_e32 v11, 16, v10
	s_mul_hi_u32 s2, s8, 0x24c
	v_cndmask_b32_e64 v36, v1, v0, s0
	v_cmp_gt_i32_e64 s0, 31, v13
	ds_read2_b32 v[0:1], v9 offset0:4 offset1:228
	v_lshl_or_b32 v9, v33, 9, 0x7c00
	v_and_b32_e32 v33, 7, v36
	v_cndmask_b32_e64 v3, 0x7c00, v3, s0
	v_cmp_eq_u32_e64 s0, 0x40f, v13
	v_lshrrev_b32_e32 v13, 2, v36
	v_cmp_eq_u32_e64 s1, 3, v33
	v_cndmask_b32_e64 v3, v3, v9, s0
	v_cmp_lt_i32_e64 s0, 5, v33
	v_mul_f64 v[9:10], v[7:8], s[4:5]
	v_and_or_b32 v31, 0x1ff, v32, v31
	v_and_or_b32 v3, 0x8000, v11, v3
	s_or_b32 s0, s1, s0
	s_mul_i32 s1, s9, 0x24c
	v_add_co_ci_u32_e64 v7, s0, 0, v13, s0
	v_cmp_ne_u32_e64 s0, 0, v34
	s_waitcnt lgkmcnt(0)
	v_lshrrev_b32_e32 v33, 16, v0
	v_bfe_u32 v34, v32, 20, 11
	s_add_i32 s3, s2, s1
	v_and_b32_e32 v3, 0xffff, v3
	v_cndmask_b32_e64 v8, 0, 1, s0
	v_cmp_ne_u32_e64 s0, 0, v31
	v_mul_f16_sdwa v36, v84, v33 dst_sel:DWORD dst_unused:UNUSED_PAD src0_sel:WORD_1 src1_sel:DWORD
	v_lshrrev_b32_e32 v31, 8, v32
	s_mul_i32 s2, s8, 0x24c
	v_lshl_or_b32 v8, v8, 9, 0x7c00
	v_cndmask_b32_e64 v13, 0, 1, s0
	v_cmp_gt_i32_e64 s0, 31, v35
	v_fmac_f16_e32 v36, v84, v0
	v_and_or_b32 v9, 0x1ff, v10, v9
	v_bfe_u32 v37, v10, 20, 11
	v_and_or_b32 v31, 0xffe, v31, v13
	v_cndmask_b32_e64 v7, 0x7c00, v7, s0
	v_cmp_eq_u32_e64 s0, 0x40f, v35
	v_sub_nc_u32_e32 v13, 0x3f1, v34
	v_mul_f16_sdwa v0, v84, v0 dst_sel:DWORD dst_unused:UNUSED_PAD src0_sel:WORD_1 src1_sel:DWORD
	s_lshl_b64 s[6:7], s[2:3], 2
	v_lshrrev_b32_e32 v32, 16, v32
	v_cndmask_b32_e64 v35, v7, v8, s0
	v_cvt_f32_f16_e32 v7, v36
	v_or_b32_e32 v36, 0x1000, v31
	v_med3_i32 v13, v13, 0, 13
	v_cmp_ne_u32_e64 s0, 0, v9
	v_and_or_b32 v11, 0x8000, v14, v35
	v_cvt_f64_f32_e32 v[7:8], v7
	v_lshrrev_b32_e32 v35, 8, v10
	v_lshrrev_b32_e32 v14, v13, v36
	v_cndmask_b32_e64 v9, 0, 1, s0
	v_fma_f16 v0, v84, v33, -v0
	v_lshl_or_b32 v3, v11, 16, v3
	v_add_nc_u32_e32 v11, 0xfffffc10, v37
	v_lshlrev_b32_e32 v13, v13, v14
	v_and_or_b32 v35, 0xffe, v35, v9
	v_sub_nc_u32_e32 v9, 0x3f1, v37
	v_cvt_f32_f16_e32 v0, v0
	v_cmp_gt_i32_e64 s2, 1, v11
	v_cmp_ne_u32_e64 s0, v13, v36
	v_add_nc_u32_e32 v36, 0xfffffc10, v34
	v_or_b32_e32 v34, 0x1000, v35
	v_med3_i32 v9, v9, 0, 13
	v_cndmask_b32_e64 v13, 0, 1, s0
	v_lshl_or_b32 v39, v36, 12, v31
	v_cmp_gt_i32_e64 s0, 1, v36
	v_lshrrev_b32_e32 v40, v9, v34
	v_or_b32_e32 v38, v14, v13
	v_mul_f64 v[13:14], v[7:8], s[4:5]
	v_lshlrev_b32_e32 v8, v9, v40
	v_cndmask_b32_e64 v7, v39, v38, s0
	v_add_nc_u32_e32 v39, 0x2480, v71
	v_cmp_ne_u32_e64 s0, v8, v34
	v_lshl_or_b32 v34, v11, 12, v35
	v_and_b32_e32 v9, 7, v7
	v_cndmask_b32_e64 v8, 0, 1, s0
	v_cmp_lt_i32_e64 s0, 5, v9
	v_cmp_eq_u32_e64 s1, 3, v9
	v_lshrrev_b32_e32 v9, 2, v7
	v_or_b32_e32 v33, v40, v8
	v_cvt_f64_f32_e32 v[7:8], v0
	s_or_b32 s0, s1, s0
	v_add_co_ci_u32_e64 v9, s0, 0, v9, s0
	v_and_or_b32 v13, 0x1ff, v14, v13
	v_cmp_ne_u32_e64 s0, 0, v31
	v_cndmask_b32_e64 v0, v34, v33, s2
	v_lshrrev_b32_e32 v34, 8, v14
	v_bfe_u32 v37, v14, 20, 11
	v_cmp_eq_u32_e64 s2, 0x40f, v36
	v_cndmask_b32_e64 v31, 0, 1, s0
	v_cmp_ne_u32_e64 s0, 0, v13
	v_and_b32_e32 v33, 7, v0
	v_lshrrev_b32_e32 v0, 2, v0
	v_lshl_or_b32 v31, v31, 9, 0x7c00
	v_cndmask_b32_e64 v13, 0, 1, s0
	v_cmp_gt_i32_e64 s0, 31, v36
	v_cmp_eq_u32_e64 s1, 3, v33
	v_and_or_b32 v13, 0xffe, v34, v13
	v_cndmask_b32_e64 v38, 0x7c00, v9, s0
	v_sub_nc_u32_e32 v9, 0x3f1, v37
	v_cmp_lt_i32_e64 s0, 5, v33
	v_mul_f64 v[33:34], v[7:8], s[4:5]
	v_or_b32_e32 v7, 0x1000, v13
	v_cndmask_b32_e64 v31, v38, v31, s2
	v_med3_i32 v40, v9, 0, 13
	ds_read2_b32 v[8:9], v39 offset0:16 offset1:240
	s_or_b32 s0, s1, s0
	v_add_co_ci_u32_e64 v0, s0, 0, v0, s0
	v_lshrrev_b32_e32 v36, v40, v7
	v_cmp_ne_u32_e64 s0, 0, v35
	v_and_or_b32 v39, 0x8000, v32, v31
	v_lshlrev_b32_e32 v38, v40, v36
	v_cndmask_b32_e64 v35, 0, 1, s0
	v_cmp_gt_i32_e64 s0, 31, v11
	v_lshl_or_b32 v31, v35, 9, 0x7c00
	v_cndmask_b32_e64 v0, 0x7c00, v0, s0
	v_cmp_ne_u32_e64 s0, v38, v7
	v_and_or_b32 v32, 0x1ff, v34, v33
	s_waitcnt lgkmcnt(0)
	v_lshrrev_b32_e32 v33, 16, v8
	v_add_nc_u32_e32 v35, 0xfffffc10, v37
	v_bfe_u32 v37, v34, 20, 11
	v_cndmask_b32_e64 v7, 0, 1, s0
	v_cmp_eq_u32_e64 s0, 0x40f, v11
	v_lshl_or_b32 v11, v35, 12, v13
	v_or_b32_e32 v7, v36, v7
	v_cndmask_b32_e64 v0, v0, v31, s0
	v_mul_f16_sdwa v31, v83, v33 dst_sel:DWORD dst_unused:UNUSED_PAD src0_sel:WORD_1 src1_sel:DWORD
	v_cmp_ne_u32_e64 s0, 0, v32
	v_lshrrev_b32_e32 v36, 8, v34
	v_lshrrev_b32_e32 v34, 16, v34
	v_fmac_f16_e32 v31, v83, v8
	v_cndmask_b32_e64 v32, 0, 1, s0
	v_cmp_gt_i32_e64 s0, 1, v35
	v_mul_f16_sdwa v8, v83, v8 dst_sel:DWORD dst_unused:UNUSED_PAD src0_sel:WORD_1 src1_sel:DWORD
	v_cvt_f32_f16_e32 v31, v31
	v_and_or_b32 v38, 0xffe, v36, v32
	v_cndmask_b32_e64 v7, v11, v7, s0
	v_sub_nc_u32_e32 v11, 0x3f1, v37
	v_lshrrev_b32_e32 v36, 16, v10
	v_fma_f16 v8, v83, v33, -v8
	v_or_b32_e32 v41, 0x1000, v38
	v_and_b32_e32 v40, 7, v7
	v_med3_i32 v42, v11, 0, 13
	v_cvt_f64_f32_e32 v[10:11], v31
	v_add_co_u32 v31, s0, v5, s6
	v_and_or_b32 v0, 0x8000, v36, v0
	v_and_b32_e32 v5, 0xffff, v39
	v_add_co_ci_u32_e64 v32, s0, s7, v6, s0
	v_lshrrev_b32_e32 v6, v42, v41
	v_cmp_lt_i32_e64 s0, 5, v40
	v_cmp_eq_u32_e64 s1, 3, v40
	v_lshl_or_b32 v0, v0, 16, v5
	v_lshrrev_b32_e32 v5, 2, v7
	v_lshlrev_b32_e32 v7, v42, v6
	v_add_nc_u32_e32 v37, 0xfffffc10, v37
	s_or_b32 s0, s1, s0
	v_add_nc_u32_e32 v36, 0x2d80, v71
	v_add_co_ci_u32_e64 v5, s0, 0, v5, s0
	v_cmp_ne_u32_e64 s0, v7, v41
	v_cvt_f32_f16_e32 v7, v8
	v_lshrrev_b32_e32 v39, 16, v14
	v_mul_f64 v[10:11], v[10:11], s[4:5]
	v_cndmask_b32_e64 v33, 0, 1, s0
	v_cmp_ne_u32_e64 s0, 0, v13
	v_cvt_f64_f32_e32 v[7:8], v7
	v_or_b32_e32 v6, v6, v33
	v_cndmask_b32_e64 v13, 0, 1, s0
	v_cmp_gt_i32_e64 s0, 31, v35
	v_lshl_or_b32 v33, v37, 12, v38
	v_lshl_or_b32 v13, v13, 9, 0x7c00
	v_cndmask_b32_e64 v5, 0x7c00, v5, s0
	v_cmp_gt_i32_e64 s0, 1, v37
	v_cndmask_b32_e64 v33, v33, v6, s0
	v_cmp_eq_u32_e64 s0, 0x40f, v35
	v_and_or_b32 v10, 0x1ff, v11, v10
	v_cndmask_b32_e64 v35, v5, v13, s0
	ds_read2_b32 v[5:6], v36 offset0:28 offset1:252
	v_and_b32_e32 v36, 7, v33
	v_add_co_u32 v13, s0, v31, s6
	v_add_co_ci_u32_e64 v14, s0, s7, v32, s0
	v_and_or_b32 v39, 0x8000, v39, v35
	v_cmp_lt_i32_e64 s0, 5, v36
	v_cmp_eq_u32_e64 s1, 3, v36
	v_mul_f64 v[35:36], v[7:8], s[4:5]
	v_cmp_ne_u32_e64 s2, 0, v10
	v_lshrrev_b32_e32 v7, 2, v33
	v_lshrrev_b32_e32 v10, 8, v11
	v_bfe_u32 v33, v11, 20, 11
	s_or_b32 s0, s1, s0
	v_cndmask_b32_e64 v8, 0, 1, s2
	v_add_co_ci_u32_e64 v7, s0, 0, v7, s0
	v_cmp_ne_u32_e64 s0, 0, v38
	global_store_dword v[31:32], v3, off
	global_store_dword v[13:14], v0, off
	v_and_or_b32 v10, 0xffe, v10, v8
	v_sub_nc_u32_e32 v8, 0x3f1, v33
	s_waitcnt lgkmcnt(0)
	v_lshrrev_b32_e32 v40, 16, v5
	v_cndmask_b32_e64 v38, 0, 1, s0
	v_cmp_gt_i32_e64 s0, 31, v37
	v_or_b32_e32 v41, 0x1000, v10
	v_med3_i32 v8, v8, 0, 13
	v_mul_f16_sdwa v42, v82, v40 dst_sel:DWORD dst_unused:UNUSED_PAD src0_sel:WORD_1 src1_sel:DWORD
	v_lshl_or_b32 v38, v38, 9, 0x7c00
	v_cndmask_b32_e64 v7, 0x7c00, v7, s0
	v_cmp_eq_u32_e64 s0, 0x40f, v37
	v_lshrrev_b32_e32 v43, v8, v41
	v_and_or_b32 v35, 0x1ff, v36, v35
	v_fmac_f16_e32 v42, v82, v5
	v_bfe_u32 v44, v36, 20, 11
	v_cndmask_b32_e64 v37, v7, v38, s0
	v_lshlrev_b32_e32 v38, v8, v43
	v_cmp_ne_u32_e64 s0, 0, v35
	v_cvt_f32_f16_e32 v7, v42
	v_lshrrev_b32_e32 v42, 8, v36
	v_and_or_b32 v34, 0x8000, v34, v37
	v_and_b32_e32 v37, 0xffff, v39
	v_cndmask_b32_e64 v35, 0, 1, s0
	v_cmp_ne_u32_e64 s0, v38, v41
	v_cvt_f64_f32_e32 v[7:8], v7
	v_add_nc_u32_e32 v41, 0xfffffc10, v33
	v_sub_nc_u32_e32 v33, 0x3f1, v44
	v_and_or_b32 v35, 0xffe, v42, v35
	v_cndmask_b32_e64 v38, 0, 1, s0
	v_mul_f16_sdwa v5, v82, v5 dst_sel:DWORD dst_unused:UNUSED_PAD src0_sel:WORD_1 src1_sel:DWORD
	v_lshl_or_b32 v42, v41, 12, v10
	v_med3_i32 v33, v33, 0, 13
	v_cmp_gt_i32_e64 s0, 1, v41
	v_or_b32_e32 v38, v43, v38
	v_or_b32_e32 v43, 0x1000, v35
	v_lshl_or_b32 v0, v34, 16, v37
	v_fma_f16 v5, v82, v40, -v5
	v_add_nc_u32_e32 v37, 0xfffffc10, v44
	v_cndmask_b32_e64 v38, v42, v38, s0
	v_lshrrev_b32_e32 v39, v33, v43
	v_add_co_u32 v13, s0, v13, s6
	v_add_co_ci_u32_e64 v14, s0, s7, v14, s0
	v_lshlrev_b32_e32 v33, v33, v39
	v_and_b32_e32 v3, 7, v38
	v_mul_f64 v[31:32], v[7:8], s[4:5]
	v_cvt_f32_f16_e32 v5, v5
	v_lshl_or_b32 v8, v37, 12, v35
	v_cmp_ne_u32_e64 s1, v33, v43
	v_cmp_lt_i32_e64 s0, 5, v3
	v_cmp_eq_u32_e64 s2, 0x40f, v41
	v_cvt_f64_f32_e32 v[33:34], v5
	v_lshrrev_b32_e32 v11, 16, v11
	v_cndmask_b32_e64 v7, 0, 1, s1
	v_cmp_eq_u32_e64 s1, 3, v3
	v_lshrrev_b32_e32 v3, 2, v38
	v_lshrrev_b32_e32 v36, 16, v36
	global_store_dword v[13:14], v0, off
	v_or_b32_e32 v7, v39, v7
	s_or_b32 s0, s1, s0
	v_add_nc_u32_e32 v39, 0x3700, v71
	v_add_co_ci_u32_e64 v3, s0, 0, v3, s0
	v_cmp_gt_i32_e64 s0, 1, v37
	v_bfe_u32 v38, v32, 20, 11
	v_cndmask_b32_e64 v5, v8, v7, s0
	v_cmp_gt_i32_e64 s0, 31, v41
	v_and_or_b32 v7, 0x1ff, v32, v31
	v_lshrrev_b32_e32 v31, 8, v32
	v_sub_nc_u32_e32 v42, 0x3f1, v38
	v_mul_f64 v[33:34], v[33:34], s[4:5]
	v_cndmask_b32_e64 v3, 0x7c00, v3, s0
	v_cmp_ne_u32_e64 s0, 0, v10
	v_and_b32_e32 v10, 7, v5
	v_lshrrev_b32_e32 v5, 2, v5
	v_add_nc_u32_e32 v41, 0xfffffc10, v38
	v_cndmask_b32_e64 v8, 0, 1, s0
	v_cmp_ne_u32_e64 s0, 0, v7
	v_cmp_eq_u32_e64 s1, 3, v10
	v_lshl_or_b32 v40, v8, 9, 0x7c00
	v_cndmask_b32_e64 v7, 0, 1, s0
	v_cmp_lt_i32_e64 s0, 5, v10
	v_cndmask_b32_e64 v3, v3, v40, s2
	v_and_or_b32 v31, 0xffe, v31, v7
	ds_read2_b32 v[7:8], v39 offset0:8 offset1:232
	v_med3_i32 v39, v42, 0, 13
	s_or_b32 s0, s1, s0
	v_and_or_b32 v3, 0x8000, v11, v3
	v_or_b32_e32 v10, 0x1000, v31
	v_add_co_ci_u32_e64 v5, s0, 0, v5, s0
	v_cmp_ne_u32_e64 s0, 0, v35
	v_bfe_u32 v38, v34, 20, 11
	v_lshrrev_b32_e32 v40, v39, v10
	v_and_b32_e32 v3, 0xffff, v3
	v_cndmask_b32_e64 v35, 0, 1, s0
	v_cmp_gt_i32_e64 s0, 31, v37
	v_lshlrev_b32_e32 v11, v39, v40
	v_lshl_or_b32 v35, v35, 9, 0x7c00
	v_cndmask_b32_e64 v5, 0x7c00, v5, s0
	v_cmp_ne_u32_e64 s0, v11, v10
	v_and_or_b32 v11, 0x1ff, v34, v33
	s_waitcnt lgkmcnt(0)
	v_lshrrev_b32_e32 v39, 16, v7
	v_cndmask_b32_e64 v10, 0, 1, s0
	v_cmp_eq_u32_e64 s0, 0x40f, v37
	v_mul_f16_sdwa v33, v81, v39 dst_sel:DWORD dst_unused:UNUSED_PAD src0_sel:WORD_1 src1_sel:DWORD
	v_lshrrev_b32_e32 v37, 8, v34
	v_or_b32_e32 v10, v40, v10
	v_cndmask_b32_e64 v5, v5, v35, s0
	v_cmp_ne_u32_e64 s0, 0, v11
	v_lshl_or_b32 v35, v41, 12, v31
	v_fmac_f16_e32 v33, v81, v7
	v_mul_f16_sdwa v7, v81, v7 dst_sel:DWORD dst_unused:UNUSED_PAD src0_sel:WORD_1 src1_sel:DWORD
	v_and_or_b32 v0, 0x8000, v36, v5
	v_cndmask_b32_e64 v11, 0, 1, s0
	v_cmp_gt_i32_e64 s0, 1, v41
	v_cvt_f32_f16_e32 v33, v33
	v_fma_f16 v7, v81, v39, -v7
	v_lshl_or_b32 v0, v0, 16, v3
	v_and_or_b32 v40, 0xffe, v37, v11
	v_sub_nc_u32_e32 v37, 0x3f1, v38
	v_cndmask_b32_e64 v35, v35, v10, s0
	v_cvt_f64_f32_e32 v[10:11], v33
	v_cvt_f32_f16_e32 v7, v7
	v_or_b32_e32 v42, 0x1000, v40
	v_med3_i32 v37, v37, 0, 13
	v_and_b32_e32 v33, 7, v35
	v_lshrrev_b32_e32 v3, 2, v35
	v_add_nc_u32_e32 v39, 0xfffffc10, v38
	v_lshrrev_b32_e32 v5, v37, v42
	v_cmp_lt_i32_e64 s0, 5, v33
	v_cmp_eq_u32_e64 s1, 3, v33
	v_lshlrev_b32_e32 v33, v37, v5
	v_cvt_f64_f32_e32 v[37:38], v7
	s_or_b32 s0, s1, s0
	v_lshl_or_b32 v7, v39, 12, v40
	v_add_co_ci_u32_e64 v3, s0, 0, v3, s0
	v_cmp_ne_u32_e64 s0, v33, v42
	v_mul_f64 v[35:36], v[10:11], s[4:5]
	v_cndmask_b32_e64 v33, 0, 1, s0
	v_cmp_ne_u32_e64 s0, 0, v31
	v_lshrrev_b32_e32 v31, 16, v32
	v_or_b32_e32 v5, v5, v33
	v_cndmask_b32_e64 v10, 0, 1, s0
	v_cmp_gt_i32_e64 s0, 31, v41
	v_lshl_or_b32 v10, v10, 9, 0x7c00
	v_cndmask_b32_e64 v3, 0x7c00, v3, s0
	v_cmp_gt_i32_e64 s0, 1, v39
	v_cndmask_b32_e64 v5, v7, v5, s0
	v_cmp_eq_u32_e64 s0, 0x40f, v41
	v_add_nc_u32_e32 v7, 0x4000, v71
	v_lshrrev_b32_e32 v33, 8, v36
	v_and_b32_e32 v32, 7, v5
	v_cndmask_b32_e64 v3, v3, v10, s0
	ds_read2_b32 v[10:11], v7 offset0:20 offset1:244
	v_add_co_u32 v13, s0, v13, s6
	v_add_co_ci_u32_e64 v14, s0, s7, v14, s0
	v_and_or_b32 v3, 0x8000, v31, v3
	v_cmp_lt_i32_e64 s0, 5, v32
	v_cmp_eq_u32_e64 s1, 3, v32
	v_mul_f64 v[31:32], v[37:38], s[4:5]
	v_and_or_b32 v7, 0x1ff, v36, v35
	v_lshrrev_b32_e32 v5, 2, v5
	v_bfe_u32 v35, v36, 20, 11
	s_or_b32 s0, s1, s0
	v_and_b32_e32 v3, 0xffff, v3
	v_cmp_ne_u32_e64 s2, 0, v7
	v_add_co_ci_u32_e64 v5, s0, 0, v5, s0
	v_cmp_ne_u32_e64 s0, 0, v40
	global_store_dword v[13:14], v0, off
	v_cndmask_b32_e64 v7, 0, 1, s2
	s_waitcnt lgkmcnt(0)
	v_lshrrev_b32_e32 v37, 16, v10
	v_cndmask_b32_e64 v38, 0, 1, s0
	v_cmp_gt_i32_e64 s0, 31, v39
	v_and_or_b32 v7, 0xffe, v33, v7
	v_sub_nc_u32_e32 v33, 0x3f1, v35
	v_mul_f16_sdwa v41, v80, v37 dst_sel:DWORD dst_unused:UNUSED_PAD src0_sel:WORD_1 src1_sel:DWORD
	v_lshl_or_b32 v38, v38, 9, 0x7c00
	v_cndmask_b32_e64 v5, 0x7c00, v5, s0
	v_or_b32_e32 v40, 0x1000, v7
	v_med3_i32 v33, v33, 0, 13
	v_and_or_b32 v31, 0x1ff, v32, v31
	v_cmp_eq_u32_e64 s0, 0x40f, v39
	v_fmac_f16_e32 v41, v80, v10
	v_bfe_u32 v43, v32, 20, 11
	v_lshrrev_b32_e32 v42, v33, v40
	v_add_nc_u32_e32 v35, 0xfffffc10, v35
	v_cndmask_b32_e64 v5, v5, v38, s0
	v_cmp_ne_u32_e64 s0, 0, v31
	v_lshrrev_b32_e32 v38, 16, v34
	v_cvt_f32_f16_e32 v34, v41
	v_lshlrev_b32_e32 v39, v33, v42
	v_lshrrev_b32_e32 v41, 8, v32
	v_cndmask_b32_e64 v31, 0, 1, s0
	v_and_or_b32 v5, 0x8000, v38, v5
	v_cvt_f64_f32_e32 v[33:34], v34
	v_cmp_ne_u32_e64 s0, v39, v40
	v_sub_nc_u32_e32 v40, 0x3f1, v43
	v_and_or_b32 v31, 0xffe, v41, v31
	v_mul_f16_sdwa v10, v80, v10 dst_sel:DWORD dst_unused:UNUSED_PAD src0_sel:WORD_1 src1_sel:DWORD
	v_lshl_or_b32 v3, v5, 16, v3
	v_cndmask_b32_e64 v39, 0, 1, s0
	v_med3_i32 v40, v40, 0, 13
	v_or_b32_e32 v41, 0x1000, v31
	v_cmp_gt_i32_e64 s0, 1, v35
	v_fma_f16 v0, v80, v37, -v10
	v_or_b32_e32 v38, v42, v39
	v_lshl_or_b32 v39, v35, 12, v7
	v_lshrrev_b32_e32 v42, v40, v41
	v_cvt_f32_f16_e32 v0, v0
	v_cndmask_b32_e64 v39, v39, v38, s0
	v_lshlrev_b32_e32 v10, v40, v42
	v_add_co_u32 v13, s0, v13, s6
	v_add_co_ci_u32_e64 v14, s0, s7, v14, s0
	v_and_b32_e32 v5, 7, v39
	v_cmp_ne_u32_e64 s1, v10, v41
	v_mul_f64 v[33:34], v[33:34], s[4:5]
	v_cvt_f64_f32_e32 v[37:38], v0
	global_store_dword v[13:14], v3, off
	v_cmp_lt_i32_e64 s0, 5, v5
	v_cndmask_b32_e64 v0, 0, 1, s1
	v_cmp_eq_u32_e64 s1, 3, v5
	v_lshrrev_b32_e32 v3, 2, v39
	v_add_nc_u32_e32 v10, 0xfffffc10, v43
	v_or_b32_e32 v0, v42, v0
	s_or_b32 s0, s1, s0
	v_add_co_ci_u32_e64 v3, s0, 0, v3, s0
	v_cmp_ne_u32_e64 s0, 0, v7
	v_lshl_or_b32 v5, v10, 12, v31
	v_cndmask_b32_e64 v7, 0, 1, s0
	v_cmp_gt_i32_e64 s0, 1, v10
	v_lshrrev_b32_e32 v39, 8, v34
	v_mul_f64 v[37:38], v[37:38], s[4:5]
	v_lshl_or_b32 v7, v7, 9, 0x7c00
	v_cndmask_b32_e64 v0, v5, v0, s0
	v_and_or_b32 v5, 0x1ff, v34, v33
	v_cmp_gt_i32_e64 s0, 31, v35
	v_bfe_u32 v40, v34, 20, 11
	v_and_b32_e32 v33, 7, v0
	v_lshrrev_b32_e32 v0, 2, v0
	v_cndmask_b32_e64 v3, 0x7c00, v3, s0
	v_cmp_ne_u32_e64 s0, 0, v5
	v_cmp_eq_u32_e64 s1, 3, v33
	v_cndmask_b32_e64 v5, 0, 1, s0
	v_cmp_eq_u32_e64 s0, 0x40f, v35
	v_sub_nc_u32_e32 v35, 0x3f1, v40
	v_add_nc_u32_e32 v40, 0xfffffc10, v40
	v_and_or_b32 v5, 0xffe, v39, v5
	v_cndmask_b32_e64 v3, v3, v7, s0
	v_cmp_lt_i32_e64 s0, 5, v33
	v_lshrrev_b32_e32 v39, 16, v12
	v_med3_i32 v35, v35, 0, 13
	v_or_b32_e32 v33, 0x1000, v5
	v_lshrrev_b32_e32 v7, 16, v36
	s_or_b32 s0, s1, s0
	v_mul_f16_sdwa v36, v79, v39 dst_sel:DWORD dst_unused:UNUSED_PAD src0_sel:WORD_1 src1_sel:DWORD
	v_add_co_ci_u32_e64 v0, s0, 0, v0, s0
	v_cmp_ne_u32_e64 s0, 0, v31
	v_lshrrev_b32_e32 v41, v35, v33
	v_and_or_b32 v37, 0x1ff, v38, v37
	v_fmac_f16_e32 v36, v79, v12
	v_lshrrev_b32_e32 v42, 8, v38
	v_cndmask_b32_e64 v31, 0, 1, s0
	v_cmp_gt_i32_e64 s0, 31, v10
	v_lshlrev_b32_e32 v35, v35, v41
	v_cvt_f32_f16_e32 v36, v36
	v_bfe_u32 v43, v38, 20, 11
	v_lshl_or_b32 v31, v31, 9, 0x7c00
	v_cndmask_b32_e64 v0, 0x7c00, v0, s0
	v_cmp_ne_u32_e64 s0, 0, v37
	v_mul_f16_sdwa v12, v79, v12 dst_sel:DWORD dst_unused:UNUSED_PAD src0_sel:WORD_1 src1_sel:DWORD
	v_and_or_b32 v3, 0x8000, v7, v3
	v_cndmask_b32_e64 v37, 0, 1, s0
	v_cmp_ne_u32_e64 s0, v35, v33
	v_cvt_f64_f32_e32 v[35:36], v36
	v_fma_f16 v7, v79, v39, -v12
	v_and_b32_e32 v3, 0xffff, v3
	v_and_or_b32 v37, 0xffe, v42, v37
	v_cndmask_b32_e64 v33, 0, 1, s0
	v_sub_nc_u32_e32 v42, 0x3f1, v43
	v_cmp_eq_u32_e64 s0, 0x40f, v10
	v_cvt_f32_f16_e32 v7, v7
	v_or_b32_e32 v10, v41, v33
	v_or_b32_e32 v33, 0x1000, v37
	v_med3_i32 v41, v42, 0, 13
	v_cndmask_b32_e64 v0, v0, v31, s0
	v_lshl_or_b32 v31, v40, 12, v5
	v_cmp_gt_i32_e64 s0, 1, v40
	v_lshrrev_b32_e32 v42, v41, v33
	v_cndmask_b32_e64 v10, v31, v10, s0
	v_lshrrev_b32_e32 v31, 16, v32
	v_lshlrev_b32_e32 v39, v41, v42
	v_and_b32_e32 v12, 7, v10
	v_and_or_b32 v0, 0x8000, v31, v0
	v_mul_f64 v[31:32], v[35:36], s[4:5]
	v_cmp_ne_u32_e64 s1, v39, v33
	v_cvt_f64_f32_e32 v[35:36], v7
	v_cmp_lt_i32_e64 s0, 5, v12
	v_lshl_or_b32 v0, v0, 16, v3
	v_lshrrev_b32_e32 v3, 2, v10
	v_cndmask_b32_e64 v33, 0, 1, s1
	v_cmp_eq_u32_e64 s1, 3, v12
	v_add_nc_u32_e32 v7, 0xfffffc10, v43
	v_or_b32_e32 v10, v42, v33
	s_or_b32 s0, s1, s0
	v_lshl_or_b32 v12, v7, 12, v37
	v_add_co_ci_u32_e64 v3, s0, 0, v3, s0
	v_cmp_gt_i32_e64 s0, 1, v7
	v_cndmask_b32_e64 v10, v12, v10, s0
	v_add_co_u32 v12, s0, v13, s6
	v_add_co_ci_u32_e64 v13, s0, s7, v14, s0
	v_cmp_gt_i32_e64 s0, 31, v40
	v_and_or_b32 v31, 0x1ff, v32, v31
	v_and_b32_e32 v14, 7, v10
	v_mul_f64 v[35:36], v[35:36], s[4:5]
	v_lshrrev_b32_e32 v10, 2, v10
	v_cndmask_b32_e64 v3, 0x7c00, v3, s0
	v_cmp_ne_u32_e64 s0, 0, v5
	v_cmp_ne_u32_e64 s1, 0, v31
	v_lshrrev_b32_e32 v33, 8, v32
	v_bfe_u32 v39, v32, 20, 11
	global_store_dword v[12:13], v0, off
	v_cndmask_b32_e64 v5, 0, 1, s0
	v_cmp_lt_i32_e64 s0, 5, v14
	v_cndmask_b32_e64 v31, 0, 1, s1
	v_cmp_eq_u32_e64 s1, 3, v14
	v_lshl_or_b32 v5, v5, 9, 0x7c00
	v_and_or_b32 v14, 0xffe, v33, v31
	s_or_b32 s0, s1, s0
	v_sub_nc_u32_e32 v31, 0x3f1, v39
	v_add_co_ci_u32_e64 v10, s0, 0, v10, s0
	v_cmp_eq_u32_e64 s0, 0x40f, v40
	v_or_b32_e32 v33, 0x1000, v14
	v_med3_i32 v31, v31, 0, 13
	v_and_or_b32 v35, 0x1ff, v36, v35
	v_lshrrev_b32_e32 v40, 16, v2
	v_cndmask_b32_e64 v3, v3, v5, s0
	v_cmp_gt_i32_e64 s0, 31, v7
	v_lshrrev_b32_e32 v5, 16, v34
	v_lshrrev_b32_e32 v34, v31, v33
	v_mul_f16_sdwa v41, v78, v40 dst_sel:DWORD dst_unused:UNUSED_PAD src0_sel:WORD_1 src1_sel:DWORD
	v_lshrrev_b32_e32 v42, 8, v36
	v_cndmask_b32_e64 v10, 0x7c00, v10, s0
	v_cmp_ne_u32_e64 s0, 0, v37
	v_lshlrev_b32_e32 v31, v31, v34
	v_bfe_u32 v43, v36, 20, 11
	v_fmac_f16_e32 v41, v78, v2
	v_add_nc_u32_e32 v39, 0xfffffc10, v39
	v_cndmask_b32_e64 v37, 0, 1, s0
	v_cmp_ne_u32_e64 s0, 0, v35
	v_and_or_b32 v0, 0x8000, v5, v3
	v_mul_f16_sdwa v2, v78, v2 dst_sel:DWORD dst_unused:UNUSED_PAD src0_sel:WORD_1 src1_sel:DWORD
	v_cmp_eq_u32_e64 s2, 0x40f, v39
	v_lshl_or_b32 v37, v37, 9, 0x7c00
	v_cndmask_b32_e64 v35, 0, 1, s0
	v_cmp_ne_u32_e64 s0, v31, v33
	v_sub_nc_u32_e32 v33, 0x3f1, v43
	v_and_b32_e32 v0, 0xffff, v0
	v_and_or_b32 v35, 0xffe, v42, v35
	v_cndmask_b32_e64 v31, 0, 1, s0
	v_med3_i32 v44, v33, 0, 13
	v_cmp_gt_i32_e64 s0, 1, v39
	v_or_b32_e32 v42, 0x1000, v35
	v_or_b32_e32 v31, v34, v31
	v_cvt_f32_f16_e32 v34, v41
	v_lshl_or_b32 v41, v39, 12, v14
	v_cvt_f64_f32_e32 v[33:34], v34
	v_cndmask_b32_e64 v31, v41, v31, s0
	v_lshrrev_b32_e32 v41, v44, v42
	v_cmp_eq_u32_e64 s0, 0x40f, v7
	v_cndmask_b32_e64 v7, v10, v37, s0
	v_lshrrev_b32_e32 v10, 16, v38
	v_lshlrev_b32_e32 v38, v44, v41
	v_and_b32_e32 v37, 7, v31
	v_and_or_b32 v5, 0x8000, v10, v7
	v_cmp_ne_u32_e64 s1, v38, v42
	v_cmp_lt_i32_e64 s0, 5, v37
	v_lshrrev_b32_e32 v10, 2, v31
	v_add_nc_u32_e32 v7, 0xfffffc10, v43
	v_fma_f16 v38, v78, v40, -v2
	v_cndmask_b32_e64 v3, 0, 1, s1
	v_cmp_eq_u32_e64 s1, 3, v37
	v_lshl_or_b32 v0, v5, 16, v0
	v_lshl_or_b32 v37, v7, 12, v35
	v_or_b32_e32 v31, v41, v3
	s_or_b32 s0, s1, s0
	v_mul_f64 v[2:3], v[33:34], s[4:5]
	v_add_co_ci_u32_e64 v10, s0, 0, v10, s0
	v_cmp_gt_i32_e64 s0, 1, v7
	v_cvt_f32_f16_e32 v33, v38
	v_mul_f16_sdwa v41, v77, v4 dst_sel:DWORD dst_unused:UNUSED_PAD src0_sel:WORD_1 src1_sel:DWORD
	v_cndmask_b32_e64 v31, v37, v31, s0
	v_cmp_ne_u32_e64 s0, 0, v14
	v_cvt_f64_f32_e32 v[33:34], v33
	v_and_b32_e32 v37, 7, v31
	v_cndmask_b32_e64 v14, 0, 1, s0
	v_cmp_gt_i32_e64 s0, 31, v39
	v_cmp_eq_u32_e64 s1, 3, v37
	v_lshl_or_b32 v14, v14, 9, 0x7c00
	v_cndmask_b32_e64 v10, 0x7c00, v10, s0
	v_cmp_lt_i32_e64 s0, 5, v37
	v_and_or_b32 v2, 0x1ff, v3, v2
	v_lshrrev_b32_e32 v37, 8, v3
	v_bfe_u32 v38, v3, 20, 11
	v_cndmask_b32_e64 v5, v10, v14, s2
	v_lshrrev_b32_e32 v10, 2, v31
	s_or_b32 s0, s1, s0
	v_lshrrev_b32_e32 v14, 16, v32
	s_mul_hi_u32 s2, s8, 0xfffff0cc
	s_mul_i32 s1, s9, 0xfffff0cc
	v_add_co_ci_u32_e64 v10, s0, 0, v10, s0
	v_cmp_ne_u32_e64 s0, 0, v35
	v_mul_f64 v[31:32], v[33:34], s[4:5]
	v_sub_nc_u32_e32 v34, 0x3f1, v38
	v_and_or_b32 v5, 0x8000, v14, v5
	v_cndmask_b32_e64 v35, 0, 1, s0
	v_cmp_ne_u32_e64 s0, 0, v2
	v_and_b32_e32 v5, 0xffff, v5
	v_lshl_or_b32 v33, v35, 9, 0x7c00
	v_cndmask_b32_e64 v2, 0, 1, s0
	v_cmp_gt_i32_e64 s0, 31, v7
	v_lshrrev_b32_e32 v35, 16, v4
	v_and_or_b32 v2, 0xffe, v37, v2
	v_cndmask_b32_e64 v10, 0x7c00, v10, s0
	v_cmp_eq_u32_e64 s0, 0x40f, v7
	v_cndmask_b32_e64 v7, v10, v33, s0
	v_lshrrev_b32_e32 v10, 16, v36
	v_or_b32_e32 v36, 0x1000, v2
	v_med3_i32 v33, v34, 0, 13
	v_mul_f16_sdwa v34, v77, v35 dst_sel:DWORD dst_unused:UNUSED_PAD src0_sel:WORD_1 src1_sel:DWORD
	v_and_or_b32 v14, 0x1ff, v32, v31
	v_and_or_b32 v7, 0x8000, v10, v7
	v_add_co_u32 v12, s0, v12, s6
	v_fmac_f16_e32 v34, v77, v4
	v_lshrrev_b32_e32 v10, v33, v36
	v_add_co_ci_u32_e64 v13, s0, s7, v13, s0
	v_cmp_ne_u32_e64 s0, 0, v14
	v_cvt_f32_f16_e32 v31, v34
	v_lshlrev_b32_e32 v37, v33, v10
	v_lshrrev_b32_e32 v39, 8, v32
	v_lshl_or_b32 v7, v7, 16, v5
	v_cndmask_b32_e64 v14, 0, 1, s0
	v_cvt_f64_f32_e32 v[33:34], v31
	v_bfe_u32 v31, v32, 20, 11
	v_cmp_ne_u32_e64 s0, v37, v36
	v_add_nc_u32_e32 v37, 0xfffffc10, v38
	v_and_or_b32 v14, 0xffe, v39, v14
	v_fma_f16 v35, v77, v35, -v41
	v_sub_nc_u32_e32 v38, 0x3f1, v31
	v_cndmask_b32_e64 v36, 0, 1, s0
	s_sub_i32 s0, s2, s8
	v_or_b32_e32 v39, 0x1000, v14
	s_add_i32 s1, s0, s1
	v_med3_i32 v38, v38, 0, 13
	v_or_b32_e32 v10, v10, v36
	v_lshl_or_b32 v36, v37, 12, v2
	v_cmp_gt_i32_e64 s0, 1, v37
	v_cvt_f32_f16_e32 v35, v35
	v_add_nc_u32_e32 v31, 0xfffffc10, v31
	v_cndmask_b32_e64 v10, v36, v10, s0
	v_lshrrev_b32_e32 v36, v38, v39
	s_mul_i32 s0, s8, 0xfffff0cc
	v_mul_f64 v[33:34], v[33:34], s[4:5]
	s_lshl_b64 s[8:9], s[0:1], 2
	v_and_b32_e32 v40, 7, v10
	v_lshlrev_b32_e32 v38, v38, v36
	v_add_co_u32 v4, s0, v12, s8
	v_add_co_ci_u32_e64 v5, s0, s9, v13, s0
	v_cmp_ne_u32_e64 s1, v38, v39
	v_cmp_lt_i32_e64 s0, 5, v40
	v_lshrrev_b32_e32 v10, 2, v10
	v_lshl_or_b32 v39, v31, 12, v14
	global_store_dword v[12:13], v0, off
	global_store_dword v[4:5], v7, off
	v_cndmask_b32_e64 v38, 0, 1, s1
	v_cmp_eq_u32_e64 s1, 3, v40
	v_or_b32_e32 v38, v36, v38
	s_or_b32 s0, s1, s0
	v_cvt_f64_f32_e32 v[35:36], v35
	v_add_co_ci_u32_e64 v10, s0, 0, v10, s0
	v_cmp_ne_u32_e64 s0, 0, v2
	v_and_or_b32 v33, 0x1ff, v34, v33
	v_lshrrev_b32_e32 v40, 8, v34
	v_bfe_u32 v41, v34, 20, 11
	v_lshrrev_b32_e32 v34, 16, v34
	v_cndmask_b32_e64 v2, 0, 1, s0
	v_cmp_gt_i32_e64 s0, 1, v31
	v_lshl_or_b32 v2, v2, 9, 0x7c00
	v_cndmask_b32_e64 v38, v39, v38, s0
	v_cmp_gt_i32_e64 s0, 31, v37
	v_and_b32_e32 v39, 7, v38
	v_cndmask_b32_e64 v10, 0x7c00, v10, s0
	v_cmp_ne_u32_e64 s0, 0, v33
	v_cmp_eq_u32_e64 s1, 3, v39
	v_cndmask_b32_e64 v33, 0, 1, s0
	v_cmp_eq_u32_e64 s0, 0x40f, v37
	v_lshrrev_b32_e32 v37, 16, v3
	v_and_or_b32 v33, 0xffe, v40, v33
	v_cndmask_b32_e64 v10, v10, v2, s0
	v_cmp_lt_i32_e64 s0, 5, v39
	v_mul_f64 v[2:3], v[35:36], s[4:5]
	v_lshrrev_b32_e32 v36, 2, v38
	v_sub_nc_u32_e32 v40, 0x3f1, v41
	v_or_b32_e32 v38, 0x1000, v33
	s_or_b32 s0, s1, s0
	v_lshrrev_b32_e32 v35, 16, v1
	v_add_co_ci_u32_e64 v36, s0, 0, v36, s0
	v_med3_i32 v39, v40, 0, 13
	v_cmp_ne_u32_e64 s0, 0, v14
	v_mul_f16_sdwa v40, v76, v35 dst_sel:DWORD dst_unused:UNUSED_PAD src0_sel:WORD_1 src1_sel:DWORD
	v_and_or_b32 v10, 0x8000, v37, v10
	v_lshrrev_b32_e32 v42, v39, v38
	v_cndmask_b32_e64 v14, 0, 1, s0
	v_cmp_gt_i32_e64 s0, 31, v31
	v_fmac_f16_e32 v40, v76, v1
	v_and_b32_e32 v10, 0xffff, v10
	v_lshlrev_b32_e32 v37, v39, v42
	v_lshl_or_b32 v14, v14, 9, 0x7c00
	v_cndmask_b32_e64 v36, 0x7c00, v36, s0
	v_cmp_eq_u32_e64 s0, 0x40f, v31
	v_and_or_b32 v2, 0x1ff, v3, v2
	v_cvt_f32_f16_e32 v39, v40
	v_bfe_u32 v40, v3, 20, 11
	v_mul_f16_sdwa v1, v76, v1 dst_sel:DWORD dst_unused:UNUSED_PAD src0_sel:WORD_1 src1_sel:DWORD
	v_cndmask_b32_e64 v14, v36, v14, s0
	v_cmp_ne_u32_e64 s0, v37, v38
	v_lshrrev_b32_e32 v36, 16, v32
	v_cvt_f64_f32_e32 v[31:32], v39
	v_add_nc_u32_e32 v38, 0xfffffc10, v41
	v_lshrrev_b32_e32 v39, 8, v3
	v_cndmask_b32_e64 v37, 0, 1, s0
	v_cmp_ne_u32_e64 s0, 0, v2
	v_and_or_b32 v14, 0x8000, v36, v14
	v_fma_f16 v1, v76, v35, -v1
	v_or_b32_e32 v36, v42, v37
	v_cndmask_b32_e64 v2, 0, 1, s0
	v_lshl_or_b32 v37, v38, 12, v33
	v_cmp_gt_i32_e64 s0, 1, v38
	v_lshl_or_b32 v7, v14, 16, v10
	v_and_or_b32 v2, 0xffe, v39, v2
	v_sub_nc_u32_e32 v39, 0x3f1, v40
	v_cndmask_b32_e64 v36, v37, v36, s0
	v_add_co_u32 v4, s0, v4, s6
	v_or_b32_e32 v37, 0x1000, v2
	v_med3_i32 v39, v39, 0, 13
	v_and_b32_e32 v0, 7, v36
	v_mul_f64 v[12:13], v[31:32], s[4:5]
	v_add_co_ci_u32_e64 v5, s0, s7, v5, s0
	v_lshrrev_b32_e32 v10, v39, v37
	v_cmp_lt_i32_e64 s0, 5, v0
	v_cmp_eq_u32_e64 s1, 3, v0
	v_lshrrev_b32_e32 v0, 2, v36
	v_add_nc_u32_e32 v31, 0xfffffc10, v40
	v_lshlrev_b32_e32 v14, v39, v10
	global_store_dword v[4:5], v7, off
	s_or_b32 s0, s1, s0
	v_add_co_ci_u32_e64 v32, s0, 0, v0, s0
	v_cmp_ne_u32_e64 s2, v14, v37
	v_cvt_f32_f16_e32 v0, v1
	v_cmp_ne_u32_e64 s0, 0, v33
	v_cndmask_b32_e64 v14, 0, 1, s2
	v_cvt_f64_f32_e32 v[0:1], v0
	v_cndmask_b32_e64 v33, 0, 1, s0
	v_cmp_gt_i32_e64 s0, 1, v31
	v_and_or_b32 v12, 0x1ff, v13, v12
	v_or_b32_e32 v10, v10, v14
	v_lshl_or_b32 v14, v31, 12, v2
	v_lshrrev_b32_e32 v35, 8, v13
	v_bfe_u32 v36, v13, 20, 11
	v_lshrrev_b32_e32 v13, 16, v13
	v_cndmask_b32_e64 v10, v14, v10, s0
	v_cmp_gt_i32_e64 s0, 31, v38
	v_cndmask_b32_e64 v14, 0x7c00, v32, s0
	v_cmp_ne_u32_e64 s0, 0, v12
	v_lshl_or_b32 v32, v33, 9, 0x7c00
	v_and_b32_e32 v33, 7, v10
	v_lshrrev_b32_e32 v10, 2, v10
	v_cndmask_b32_e64 v12, 0, 1, s0
	v_cmp_eq_u32_e64 s0, 0x40f, v38
	v_cmp_eq_u32_e64 s1, 3, v33
	v_mul_f64 v[0:1], v[0:1], s[4:5]
	v_and_or_b32 v12, 0xffe, v35, v12
	v_cndmask_b32_e64 v14, v14, v32, s0
	v_cmp_lt_i32_e64 s0, 5, v33
	v_sub_nc_u32_e32 v32, 0x3f1, v36
	v_lshrrev_b32_e32 v33, 16, v9
	v_or_b32_e32 v35, 0x1000, v12
	v_and_or_b32 v14, 0x8000, v34, v14
	s_or_b32 s0, s1, s0
	v_med3_i32 v32, v32, 0, 13
	v_add_co_ci_u32_e64 v10, s0, 0, v10, s0
	v_cmp_ne_u32_e64 s0, 0, v2
	v_mul_f16_sdwa v37, v75, v33 dst_sel:DWORD dst_unused:UNUSED_PAD src0_sel:WORD_1 src1_sel:DWORD
	v_lshrrev_b32_e32 v38, v32, v35
	v_and_b32_e32 v14, 0xffff, v14
	v_cndmask_b32_e64 v2, 0, 1, s0
	v_cmp_gt_i32_e64 s0, 31, v31
	v_lshlrev_b32_e32 v32, v32, v38
	v_fmac_f16_e32 v37, v75, v9
	v_and_or_b32 v0, 0x1ff, v1, v0
	v_lshl_or_b32 v2, v2, 9, 0x7c00
	v_cndmask_b32_e64 v10, 0x7c00, v10, s0
	v_cmp_eq_u32_e64 s0, 0x40f, v31
	v_cvt_f32_f16_e32 v37, v37
	v_lshrrev_b32_e32 v31, 16, v3
	v_lshrrev_b32_e32 v34, 8, v1
	v_mul_f16_sdwa v9, v75, v9 dst_sel:DWORD dst_unused:UNUSED_PAD src0_sel:WORD_1 src1_sel:DWORD
	v_cndmask_b32_e64 v10, v10, v2, s0
	v_cmp_ne_u32_e64 s0, v32, v35
	v_add_nc_u32_e32 v35, 0xfffffc10, v36
	v_cvt_f64_f32_e32 v[2:3], v37
	v_bfe_u32 v36, v1, 20, 11
	v_and_or_b32 v10, 0x8000, v31, v10
	v_cndmask_b32_e64 v32, 0, 1, s0
	v_cmp_ne_u32_e64 s0, 0, v0
	v_fma_f16 v9, v75, v33, -v9
	v_lshrrev_b32_e32 v1, 16, v1
	v_lshl_or_b32 v7, v10, 16, v14
	v_or_b32_e32 v31, v38, v32
	v_lshl_or_b32 v32, v35, 12, v12
	v_cndmask_b32_e64 v0, 0, 1, s0
	v_cmp_gt_i32_e64 s0, 1, v35
	v_cvt_f32_f16_e32 v9, v9
	v_and_or_b32 v0, 0xffe, v34, v0
	v_cndmask_b32_e64 v31, v32, v31, s0
	v_sub_nc_u32_e32 v32, 0x3f1, v36
	v_add_co_u32 v4, s0, v4, s6
	v_or_b32_e32 v14, 0x1000, v0
	v_and_b32_e32 v10, 7, v31
	v_med3_i32 v32, v32, 0, 13
	v_add_co_ci_u32_e64 v5, s0, s7, v5, s0
	v_mul_f64 v[2:3], v[2:3], s[4:5]
	v_cmp_lt_i32_e64 s0, 5, v10
	v_lshrrev_b32_e32 v34, v32, v14
	v_cmp_eq_u32_e64 s1, 3, v10
	global_store_dword v[4:5], v7, off
	v_lshrrev_b32_e32 v7, 2, v31
	v_add_nc_u32_e32 v31, 0xfffffc10, v36
	v_lshlrev_b32_e32 v10, v32, v34
	s_or_b32 s0, s1, s0
	v_add_co_u32 v4, s2, v4, s6
	v_add_co_ci_u32_e64 v7, s0, 0, v7, s0
	v_cmp_ne_u32_e64 s0, v10, v14
	v_cvt_f64_f32_e32 v[9:10], v9
	v_lshl_or_b32 v32, v31, 12, v0
	v_add_co_ci_u32_e64 v5, s2, s7, v5, s2
	v_cndmask_b32_e64 v14, 0, 1, s0
	v_cmp_ne_u32_e64 s0, 0, v12
	v_and_or_b32 v2, 0x1ff, v3, v2
	v_or_b32_e32 v14, v34, v14
	v_cndmask_b32_e64 v12, 0, 1, s0
	v_cmp_gt_i32_e64 s0, 31, v35
	v_bfe_u32 v33, v3, 20, 11
	v_lshrrev_b32_e32 v34, 16, v6
	v_lshl_or_b32 v12, v12, 9, 0x7c00
	v_cndmask_b32_e64 v7, 0x7c00, v7, s0
	v_cmp_gt_i32_e64 s0, 1, v31
	v_mul_f16_sdwa v36, v74, v34 dst_sel:DWORD dst_unused:UNUSED_PAD src0_sel:WORD_1 src1_sel:DWORD
	v_cndmask_b32_e64 v14, v32, v14, s0
	v_cmp_ne_u32_e64 s0, 0, v2
	v_lshrrev_b32_e32 v32, 8, v3
	v_mul_f64 v[9:10], v[9:10], s[4:5]
	v_fmac_f16_e32 v36, v74, v6
	v_mul_f16_sdwa v6, v74, v6 dst_sel:DWORD dst_unused:UNUSED_PAD src0_sel:WORD_1 src1_sel:DWORD
	v_cndmask_b32_e64 v2, 0, 1, s0
	v_cmp_eq_u32_e64 s0, 0x40f, v35
	v_lshrrev_b32_e32 v3, 16, v3
	v_fma_f16 v6, v74, v34, -v6
	v_and_or_b32 v2, 0xffe, v32, v2
	v_cndmask_b32_e64 v7, v7, v12, s0
	v_and_b32_e32 v12, 7, v14
	v_sub_nc_u32_e32 v32, 0x3f1, v33
	v_add_nc_u32_e32 v33, 0xfffffc10, v33
	v_or_b32_e32 v35, 0x1000, v2
	v_and_or_b32 v7, 0x8000, v13, v7
	v_cmp_lt_i32_e64 s0, 5, v12
	v_cmp_eq_u32_e64 s1, 3, v12
	v_lshrrev_b32_e32 v12, 2, v14
	v_med3_i32 v32, v32, 0, 13
	v_cvt_f32_f16_e32 v13, v36
	v_and_b32_e32 v7, 0xffff, v7
	s_or_b32 s0, s1, s0
	v_and_or_b32 v9, 0x1ff, v10, v9
	v_add_co_ci_u32_e64 v12, s0, 0, v12, s0
	v_lshrrev_b32_e32 v14, v32, v35
	v_cmp_ne_u32_e64 s0, 0, v0
	v_cvt_f32_f16_e32 v6, v6
	v_lshlrev_b32_e32 v32, v32, v14
	v_cndmask_b32_e64 v0, 0, 1, s0
	v_cmp_gt_i32_e64 s0, 31, v31
	v_lshl_or_b32 v0, v0, 9, 0x7c00
	v_cndmask_b32_e64 v36, 0x7c00, v12, s0
	v_cmp_ne_u32_e64 s0, v32, v35
	v_cvt_f64_f32_e32 v[12:13], v13
	v_bfe_u32 v35, v10, 20, 11
	v_cndmask_b32_e64 v32, 0, 1, s0
	v_cmp_eq_u32_e64 s0, 0x40f, v31
	v_lshl_or_b32 v31, v33, 12, v2
	v_or_b32_e32 v14, v14, v32
	v_cndmask_b32_e64 v0, v36, v0, s0
	v_cmp_ne_u32_e64 s0, 0, v9
	v_lshrrev_b32_e32 v32, 8, v10
	v_lshrrev_b32_e32 v10, 16, v10
	v_cndmask_b32_e64 v9, 0, 1, s0
	v_cmp_gt_i32_e64 s0, 1, v33
	v_and_or_b32 v9, 0xffe, v32, v9
	v_sub_nc_u32_e32 v32, 0x3f1, v35
	v_cndmask_b32_e64 v14, v31, v14, s0
	v_and_or_b32 v31, 0x8000, v1, v0
	v_mul_f64 v[0:1], v[12:13], s[4:5]
	v_or_b32_e32 v37, 0x1000, v9
	v_med3_i32 v12, v32, 0, 13
	v_and_b32_e32 v36, 7, v14
	v_lshl_or_b32 v31, v31, 16, v7
	v_lshrrev_b32_e32 v7, 2, v14
	v_add_nc_u32_e32 v32, 0xfffffc10, v35
	v_lshrrev_b32_e32 v13, v12, v37
	v_cmp_lt_i32_e64 s0, 5, v36
	v_cmp_eq_u32_e64 s1, 3, v36
	v_lshlrev_b32_e32 v12, v12, v13
	s_or_b32 s0, s1, s0
	v_add_co_ci_u32_e64 v14, s0, 0, v7, s0
	v_cmp_ne_u32_e64 s0, v12, v37
	v_cvt_f64_f32_e32 v[6:7], v6
	v_and_or_b32 v0, 0x1ff, v1, v0
	v_cndmask_b32_e64 v12, 0, 1, s0
	v_cmp_gt_i32_e64 s0, 31, v33
	v_lshrrev_b32_e32 v34, 8, v1
	v_bfe_u32 v35, v1, 20, 11
	v_lshrrev_b32_e32 v1, 16, v1
	v_or_b32_e32 v12, v13, v12
	v_cndmask_b32_e64 v14, 0x7c00, v14, s0
	v_cmp_ne_u32_e64 s0, 0, v0
	v_lshl_or_b32 v13, v32, 12, v9
	v_cndmask_b32_e64 v0, 0, 1, s0
	v_cmp_ne_u32_e64 s0, 0, v2
	v_and_or_b32 v0, 0xffe, v34, v0
	v_cndmask_b32_e64 v2, 0, 1, s0
	v_cmp_gt_i32_e64 s0, 1, v32
	v_lshrrev_b32_e32 v34, 16, v8
	v_mul_f64 v[6:7], v[6:7], s[4:5]
	v_or_b32_e32 v37, 0x1000, v0
	v_lshl_or_b32 v2, v2, 9, 0x7c00
	v_cndmask_b32_e64 v12, v13, v12, s0
	v_sub_nc_u32_e32 v13, 0x3f1, v35
	v_cmp_eq_u32_e64 s0, 0x40f, v33
	v_mul_f16_sdwa v38, v73, v34 dst_sel:DWORD dst_unused:UNUSED_PAD src0_sel:WORD_1 src1_sel:DWORD
	v_add_nc_u32_e32 v35, 0xfffffc10, v35
	v_and_b32_e32 v36, 7, v12
	v_med3_i32 v13, v13, 0, 13
	v_cndmask_b32_e64 v2, v14, v2, s0
	v_fmac_f16_e32 v38, v73, v8
	v_mul_f16_sdwa v8, v73, v8 dst_sel:DWORD dst_unused:UNUSED_PAD src0_sel:WORD_1 src1_sel:DWORD
	v_cmp_lt_i32_e64 s0, 5, v36
	v_lshrrev_b32_e32 v14, v13, v37
	v_cmp_eq_u32_e64 s1, 3, v36
	v_and_or_b32 v33, 0x8000, v3, v2
	v_lshrrev_b32_e32 v2, 2, v12
	v_cvt_f32_f16_e32 v12, v38
	v_lshlrev_b32_e32 v3, v13, v14
	s_or_b32 s0, s1, s0
	v_fma_f16 v8, v73, v34, -v8
	v_add_co_ci_u32_e64 v13, s0, 0, v2, s0
	v_cmp_ne_u32_e64 s0, v3, v37
	v_cvt_f64_f32_e32 v[2:3], v12
	v_and_or_b32 v6, 0x1ff, v7, v6
	v_cvt_f32_f16_e32 v8, v8
	v_lshrrev_b32_e32 v34, 16, v11
	v_cndmask_b32_e64 v36, 0, 1, s0
	v_cmp_ne_u32_e64 s0, 0, v9
	v_mul_f16_sdwa v38, v72, v34 dst_sel:DWORD dst_unused:UNUSED_PAD src0_sel:WORD_1 src1_sel:DWORD
	v_or_b32_e32 v12, v14, v36
	v_cndmask_b32_e64 v9, 0, 1, s0
	v_cmp_gt_i32_e64 s0, 31, v32
	v_lshl_or_b32 v14, v35, 12, v0
	v_bfe_u32 v36, v7, 20, 11
	v_fmac_f16_e32 v38, v72, v11
	v_lshl_or_b32 v9, v9, 9, 0x7c00
	v_cndmask_b32_e64 v13, 0x7c00, v13, s0
	v_cmp_gt_i32_e64 s0, 1, v35
	v_mul_f16_sdwa v11, v72, v11 dst_sel:DWORD dst_unused:UNUSED_PAD src0_sel:WORD_1 src1_sel:DWORD
	v_cndmask_b32_e64 v12, v14, v12, s0
	v_cmp_ne_u32_e64 s0, 0, v6
	v_lshrrev_b32_e32 v14, 8, v7
	v_mul_f64 v[2:3], v[2:3], s[4:5]
	v_fma_f16 v11, v72, v34, -v11
	v_and_b32_e32 v37, 7, v12
	v_cndmask_b32_e64 v6, 0, 1, s0
	v_cmp_eq_u32_e64 s0, 0x40f, v32
	v_cvt_f32_f16_e32 v11, v11
	v_cmp_eq_u32_e64 s1, 3, v37
	v_and_or_b32 v6, 0xffe, v14, v6
	v_cndmask_b32_e64 v9, v13, v9, s0
	v_sub_nc_u32_e32 v13, 0x3f1, v36
	v_cmp_lt_i32_e64 s0, 5, v37
	v_or_b32_e32 v14, 0x1000, v6
	v_and_or_b32 v9, 0x8000, v10, v9
	v_lshrrev_b32_e32 v10, 2, v12
	v_med3_i32 v13, v13, 0, 13
	s_or_b32 s0, s1, s0
	v_and_b32_e32 v12, 0xffff, v33
	v_add_co_ci_u32_e64 v10, s0, 0, v10, s0
	v_lshrrev_b32_e32 v32, v13, v14
	v_cmp_ne_u32_e64 s0, 0, v0
	v_lshl_or_b32 v33, v9, 16, v12
	v_and_or_b32 v2, 0x1ff, v3, v2
	v_lshlrev_b32_e32 v9, v13, v32
	v_cndmask_b32_e64 v0, 0, 1, s0
	v_cmp_gt_i32_e64 s0, 31, v35
	v_lshrrev_b32_e32 v13, 8, v3
	v_lshl_or_b32 v0, v0, 9, 0x7c00
	v_cndmask_b32_e64 v10, 0x7c00, v10, s0
	v_cmp_ne_u32_e64 s0, v9, v14
	v_add_nc_u32_e32 v14, 0xfffffc10, v36
	v_cndmask_b32_e64 v9, 0, 1, s0
	v_cmp_eq_u32_e64 s0, 0x40f, v35
	v_lshl_or_b32 v12, v14, 12, v6
	v_cndmask_b32_e64 v0, v10, v0, s0
	v_cmp_ne_u32_e64 s0, 0, v2
	v_or_b32_e32 v10, v32, v9
	v_bfe_u32 v32, v3, 20, 11
	v_cvt_f64_f32_e32 v[8:9], v8
	v_and_or_b32 v39, 0x8000, v1, v0
	v_cndmask_b32_e64 v2, 0, 1, s0
	v_cmp_gt_i32_e64 s0, 1, v14
	v_lshrrev_b32_e32 v3, 16, v3
	v_and_or_b32 v2, 0xffe, v13, v2
	v_cndmask_b32_e64 v10, v12, v10, s0
	v_sub_nc_u32_e32 v12, 0x3f1, v32
	v_add_nc_u32_e32 v32, 0xfffffc10, v32
	v_or_b32_e32 v36, 0x1000, v2
	v_and_b32_e32 v35, 7, v10
	v_med3_i32 v37, v12, 0, 13
	v_add_co_u32 v12, s0, v4, s6
	v_add_co_ci_u32_e64 v13, s0, s7, v5, s0
	v_lshrrev_b32_e32 v40, v37, v36
	v_cmp_lt_i32_e64 s0, 5, v35
	v_cmp_eq_u32_e64 s1, 3, v35
	v_lshrrev_b32_e32 v10, 2, v10
	v_mul_f64 v[0:1], v[8:9], s[4:5]
	v_lshlrev_b32_e32 v35, v37, v40
	v_cvt_f32_f16_e32 v37, v38
	s_or_b32 s0, s1, s0
	v_add_co_ci_u32_e64 v10, s0, 0, v10, s0
	v_cmp_ne_u32_e64 s0, v35, v36
	v_cvt_f64_f32_e32 v[8:9], v37
	v_lshl_or_b32 v36, v32, 12, v2
	v_cndmask_b32_e64 v35, 0, 1, s0
	v_cmp_ne_u32_e64 s0, 0, v6
	v_or_b32_e32 v35, v40, v35
	v_cndmask_b32_e64 v6, 0, 1, s0
	v_cmp_gt_i32_e64 s0, 31, v14
	v_and_or_b32 v0, 0x1ff, v1, v0
	v_lshl_or_b32 v6, v6, 9, 0x7c00
	v_cndmask_b32_e64 v10, 0x7c00, v10, s0
	v_cmp_gt_i32_e64 s0, 1, v32
	v_cndmask_b32_e64 v34, v36, v35, s0
	v_cmp_eq_u32_e64 s0, 0x40f, v14
	v_mul_f64 v[8:9], v[8:9], s[4:5]
	v_lshrrev_b32_e32 v14, 16, v7
	v_lshrrev_b32_e32 v35, 8, v1
	v_bfe_u32 v36, v1, 20, 11
	v_cndmask_b32_e64 v10, v10, v6, s0
	v_cvt_f64_f32_e32 v[6:7], v11
	v_cmp_ne_u32_e64 s0, 0, v0
	v_and_b32_e32 v11, 7, v34
	v_lshrrev_b32_e32 v1, 16, v1
	v_and_or_b32 v10, 0x8000, v14, v10
	v_and_b32_e32 v14, 0xffff, v39
	v_cndmask_b32_e64 v0, 0, 1, s0
	v_cmp_lt_i32_e64 s0, 5, v11
	v_cmp_eq_u32_e64 s1, 3, v11
	v_lshrrev_b32_e32 v11, 2, v34
	v_lshl_or_b32 v10, v10, 16, v14
	v_and_or_b32 v0, 0xffe, v35, v0
	v_sub_nc_u32_e32 v35, 0x3f1, v36
	s_or_b32 s0, s1, s0
	v_add_co_ci_u32_e64 v11, s0, 0, v11, s0
	v_or_b32_e32 v14, 0x1000, v0
	v_med3_i32 v34, v35, 0, 13
	v_cmp_ne_u32_e64 s0, 0, v2
	v_and_or_b32 v8, 0x1ff, v9, v8
	v_lshrrev_b32_e32 v37, 8, v9
	v_mul_f64 v[6:7], v[6:7], s[4:5]
	v_lshrrev_b32_e32 v35, v34, v14
	v_cndmask_b32_e64 v2, 0, 1, s0
	v_cmp_gt_i32_e64 s0, 31, v32
	v_bfe_u32 v38, v9, 20, 11
	v_lshrrev_b32_e32 v9, 16, v9
	v_lshlrev_b32_e32 v34, v34, v35
	v_lshl_or_b32 v2, v2, 9, 0x7c00
	v_cndmask_b32_e64 v11, 0x7c00, v11, s0
	v_cmp_ne_u32_e64 s0, 0, v8
	v_cndmask_b32_e64 v8, 0, 1, s0
	v_cmp_ne_u32_e64 s0, v34, v14
	v_add_nc_u32_e32 v34, 0xfffffc10, v36
	v_sub_nc_u32_e32 v36, 0x3f1, v38
	v_and_or_b32 v8, 0xffe, v37, v8
	v_cndmask_b32_e64 v14, 0, 1, s0
	v_cmp_eq_u32_e64 s0, 0x40f, v32
	v_and_or_b32 v6, 0x1ff, v7, v6
	v_bfe_u32 v37, v7, 20, 11
	v_or_b32_e32 v32, 0x1000, v8
	v_cndmask_b32_e64 v2, v11, v2, s0
	v_or_b32_e32 v11, v35, v14
	v_lshl_or_b32 v14, v34, 12, v0
	v_med3_i32 v35, v36, 0, 13
	v_cmp_gt_i32_e64 s0, 1, v34
	v_lshrrev_b32_e32 v36, 8, v7
	v_and_or_b32 v2, 0x8000, v3, v2
	v_lshrrev_b32_e32 v7, 16, v7
	v_cndmask_b32_e64 v11, v14, v11, s0
	v_lshrrev_b32_e32 v14, v35, v32
	v_cmp_ne_u32_e64 s0, 0, v6
	v_and_b32_e32 v39, 7, v11
	v_lshlrev_b32_e32 v35, v35, v14
	v_cndmask_b32_e64 v6, 0, 1, s0
	v_lshrrev_b32_e32 v11, 2, v11
	v_cmp_lt_i32_e64 s0, 5, v39
	v_cmp_ne_u32_e64 s1, v35, v32
	v_and_or_b32 v3, 0xffe, v36, v6
	v_sub_nc_u32_e32 v6, 0x3f1, v37
	v_add_nc_u32_e32 v36, 0xfffffc10, v38
	v_cndmask_b32_e64 v32, 0, 1, s1
	v_cmp_eq_u32_e64 s1, 3, v39
	v_or_b32_e32 v35, 0x1000, v3
	v_med3_i32 v6, v6, 0, 13
	v_lshl_or_b32 v38, v36, 12, v8
	v_or_b32_e32 v14, v14, v32
	s_or_b32 s0, s1, s0
	v_add_co_ci_u32_e64 v11, s0, 0, v11, s0
	v_lshrrev_b32_e32 v32, v6, v35
	v_cmp_gt_i32_e64 s0, 1, v36
	v_lshlrev_b32_e32 v6, v6, v32
	v_cndmask_b32_e64 v14, v38, v14, s0
	v_cmp_ne_u32_e64 s0, 0, v0
	v_cndmask_b32_e64 v0, 0, 1, s0
	v_cmp_ne_u32_e64 s0, v6, v35
	v_add_nc_u32_e32 v35, 0xfffffc10, v37
	v_and_b32_e32 v37, 7, v14
	v_lshl_or_b32 v0, v0, 9, 0x7c00
	v_cndmask_b32_e64 v6, 0, 1, s0
	v_cmp_gt_i32_e64 s0, 31, v34
	v_cmp_gt_i32_e64 s2, 1, v35
	v_cmp_eq_u32_e64 s1, 3, v37
	v_or_b32_e32 v6, v32, v6
	v_lshl_or_b32 v32, v35, 12, v3
	v_cndmask_b32_e64 v11, 0x7c00, v11, s0
	v_cmp_lt_i32_e64 s0, 5, v37
	v_cndmask_b32_e64 v6, v32, v6, s2
	v_cmp_eq_u32_e64 s2, 0x40f, v34
	s_or_b32 s0, s1, s0
	v_cndmask_b32_e64 v0, v11, v0, s2
	v_lshrrev_b32_e32 v11, 2, v14
	v_and_b32_e32 v14, 7, v6
	v_lshrrev_b32_e32 v6, 2, v6
	v_cmp_gt_i32_e64 s2, 31, v36
	v_and_or_b32 v0, 0x8000, v1, v0
	v_add_co_ci_u32_e64 v11, s0, 0, v11, s0
	v_cmp_ne_u32_e64 s0, 0, v8
	v_cmp_eq_u32_e64 s1, 3, v14
	v_and_b32_e32 v1, 0xffff, v2
	v_cndmask_b32_e64 v11, 0x7c00, v11, s2
	v_cndmask_b32_e64 v8, 0, 1, s0
	v_cmp_lt_i32_e64 s0, 5, v14
	v_lshl_or_b32 v8, v8, 9, 0x7c00
	s_or_b32 s0, s1, s0
	v_add_co_ci_u32_e64 v6, s0, 0, v6, s0
	v_cmp_ne_u32_e64 s0, 0, v3
	v_cndmask_b32_e64 v3, 0, 1, s0
	v_cmp_eq_u32_e64 s0, 0x40f, v36
	v_lshl_or_b32 v3, v3, 9, 0x7c00
	v_cndmask_b32_e64 v8, v11, v8, s0
	v_cmp_gt_i32_e64 s0, 31, v35
	v_and_or_b32 v8, 0x8000, v9, v8
	v_cndmask_b32_e64 v6, 0x7c00, v6, s0
	v_cmp_eq_u32_e64 s0, 0x40f, v35
	v_lshl_or_b32 v9, v0, 16, v1
	v_and_b32_e32 v1, 0xffff, v8
	v_cndmask_b32_e64 v6, v6, v3, s0
	v_add_co_u32 v2, s0, v12, s6
	v_add_co_ci_u32_e64 v3, s0, s7, v13, s0
	v_and_or_b32 v0, 0x8000, v7, v6
	v_add_co_u32 v6, s0, v2, s6
	v_add_co_ci_u32_e64 v7, s0, s7, v3, s0
	v_lshl_or_b32 v8, v0, 16, v1
	v_add_co_u32 v0, s0, v6, s6
	v_add_co_ci_u32_e64 v1, s0, s7, v7, s0
	global_store_dword v[4:5], v31, off
	global_store_dword v[12:13], v33, off
	global_store_dword v[2:3], v10, off
	global_store_dword v[6:7], v9, off
	global_store_dword v[0:1], v8, off
	s_and_b32 exec_lo, exec_lo, vcc_lo
	s_cbranch_execz .LBB0_25
; %bb.24:
	global_load_dword v3, v[29:30], off offset:1792
	ds_read_b32 v4, v71 offset:1792
	ds_read_b32 v5, v71 offset:4144
	;; [unrolled: 1-line block ×8, first 2 shown]
	s_waitcnt lgkmcnt(7)
	v_lshrrev_b32_e32 v11, 16, v4
	s_waitcnt vmcnt(0)
	v_mul_f16_sdwa v12, v11, v3 dst_sel:DWORD dst_unused:UNUSED_PAD src0_sel:DWORD src1_sel:WORD_1
	v_mul_f16_sdwa v13, v4, v3 dst_sel:DWORD dst_unused:UNUSED_PAD src0_sel:DWORD src1_sel:WORD_1
	v_fmac_f16_e32 v12, v4, v3
	v_fma_f16 v3, v3, v11, -v13
	v_cvt_f32_f16_e32 v4, v12
	v_cvt_f32_f16_e32 v11, v3
	v_cvt_f64_f32_e32 v[3:4], v4
	v_cvt_f64_f32_e32 v[11:12], v11
	v_mul_f64 v[3:4], v[3:4], s[4:5]
	v_mul_f64 v[11:12], v[11:12], s[4:5]
	v_and_or_b32 v3, 0x1ff, v4, v3
	v_and_or_b32 v11, 0x1ff, v12, v11
	v_lshrrev_b32_e32 v13, 8, v4
	v_bfe_u32 v14, v4, 20, 11
	v_lshrrev_b32_e32 v29, 8, v12
	v_cmp_ne_u32_e32 vcc_lo, 0, v3
	v_bfe_u32 v30, v12, 20, 11
	v_lshrrev_b32_e32 v4, 16, v4
	v_sub_nc_u32_e32 v31, 0x3f1, v14
	v_add_nc_u32_e32 v14, 0xfffffc10, v14
	v_cndmask_b32_e64 v3, 0, 1, vcc_lo
	v_cmp_ne_u32_e32 vcc_lo, 0, v11
	v_lshrrev_b32_e32 v12, 16, v12
	v_and_or_b32 v3, 0xffe, v13, v3
	v_cndmask_b32_e64 v11, 0, 1, vcc_lo
	v_sub_nc_u32_e32 v13, 0x3f1, v30
	v_add_nc_u32_e32 v30, 0xfffffc10, v30
	v_and_or_b32 v11, 0xffe, v29, v11
	v_med3_i32 v29, v31, 0, 13
	v_or_b32_e32 v31, 0x1000, v3
	v_med3_i32 v13, v13, 0, 13
	v_or_b32_e32 v32, 0x1000, v11
	v_lshrrev_b32_e32 v33, v29, v31
	v_lshrrev_b32_e32 v34, v13, v32
	v_lshlrev_b32_e32 v29, v29, v33
	v_lshlrev_b32_e32 v13, v13, v34
	v_cmp_ne_u32_e32 vcc_lo, v29, v31
	v_lshl_or_b32 v31, v14, 12, v3
	v_cndmask_b32_e64 v29, 0, 1, vcc_lo
	v_cmp_ne_u32_e32 vcc_lo, v13, v32
	v_lshl_or_b32 v32, v30, 12, v11
	v_or_b32_e32 v29, v33, v29
	v_cndmask_b32_e64 v13, 0, 1, vcc_lo
	v_cmp_gt_i32_e32 vcc_lo, 1, v14
	v_or_b32_e32 v13, v34, v13
	v_cndmask_b32_e32 v29, v31, v29, vcc_lo
	v_cmp_gt_i32_e32 vcc_lo, 1, v30
	v_and_b32_e32 v31, 7, v29
	v_cndmask_b32_e32 v13, v32, v13, vcc_lo
	v_cmp_ne_u32_e32 vcc_lo, 0, v3
	v_lshrrev_b32_e32 v29, 2, v29
	v_cmp_eq_u32_e64 s0, 3, v31
	v_and_b32_e32 v32, 7, v13
	v_cndmask_b32_e64 v3, 0, 1, vcc_lo
	v_cmp_ne_u32_e32 vcc_lo, 0, v11
	v_lshrrev_b32_e32 v13, 2, v13
	v_cmp_lt_i32_e64 s1, 5, v32
	v_cmp_eq_u32_e64 s2, 3, v32
	v_cndmask_b32_e64 v11, 0, 1, vcc_lo
	v_cmp_lt_i32_e32 vcc_lo, 5, v31
	v_lshl_or_b32 v3, v3, 9, 0x7c00
	v_lshl_or_b32 v11, v11, 9, 0x7c00
	s_or_b32 vcc_lo, s0, vcc_lo
	v_add_co_ci_u32_e32 v29, vcc_lo, 0, v29, vcc_lo
	s_or_b32 vcc_lo, s2, s1
	v_add_co_ci_u32_e32 v13, vcc_lo, 0, v13, vcc_lo
	v_cmp_gt_i32_e32 vcc_lo, 31, v14
	v_cndmask_b32_e32 v29, 0x7c00, v29, vcc_lo
	v_cmp_gt_i32_e32 vcc_lo, 31, v30
	v_cndmask_b32_e32 v13, 0x7c00, v13, vcc_lo
	v_cmp_eq_u32_e32 vcc_lo, 0x40f, v14
	v_cndmask_b32_e32 v3, v29, v3, vcc_lo
	v_cmp_eq_u32_e32 vcc_lo, 0x40f, v30
	v_and_or_b32 v3, 0x8000, v4, v3
	v_cndmask_b32_e32 v11, v13, v11, vcc_lo
	v_add_co_u32 v0, vcc_lo, v0, s8
	v_add_co_ci_u32_e32 v1, vcc_lo, s9, v1, vcc_lo
	v_and_or_b32 v4, 0x8000, v12, v11
	v_and_b32_e32 v3, 0xffff, v3
	v_lshl_or_b32 v3, v4, 16, v3
	s_waitcnt lgkmcnt(6)
	v_lshrrev_b32_e32 v4, 16, v5
	global_store_dword v[0:1], v3, off
	global_load_dword v3, v[27:28], off offset:48
	s_waitcnt vmcnt(0)
	v_mul_f16_sdwa v11, v4, v3 dst_sel:DWORD dst_unused:UNUSED_PAD src0_sel:DWORD src1_sel:WORD_1
	v_mul_f16_sdwa v12, v5, v3 dst_sel:DWORD dst_unused:UNUSED_PAD src0_sel:DWORD src1_sel:WORD_1
	v_fmac_f16_e32 v11, v5, v3
	v_fma_f16 v3, v3, v4, -v12
	v_cvt_f32_f16_e32 v4, v11
	v_cvt_f32_f16_e32 v5, v3
	v_cvt_f64_f32_e32 v[3:4], v4
	v_cvt_f64_f32_e32 v[11:12], v5
	v_mul_f64 v[3:4], v[3:4], s[4:5]
	v_mul_f64 v[11:12], v[11:12], s[4:5]
	v_and_or_b32 v3, 0x1ff, v4, v3
	v_and_or_b32 v11, 0x1ff, v12, v11
	v_lshrrev_b32_e32 v5, 8, v4
	v_bfe_u32 v13, v4, 20, 11
	v_lshrrev_b32_e32 v14, 8, v12
	v_cmp_ne_u32_e32 vcc_lo, 0, v3
	v_bfe_u32 v27, v12, 20, 11
	v_lshrrev_b32_e32 v4, 16, v4
	v_sub_nc_u32_e32 v28, 0x3f1, v13
	v_add_nc_u32_e32 v13, 0xfffffc10, v13
	v_cndmask_b32_e64 v3, 0, 1, vcc_lo
	v_cmp_ne_u32_e32 vcc_lo, 0, v11
	v_lshrrev_b32_e32 v12, 16, v12
	v_and_or_b32 v3, 0xffe, v5, v3
	v_cndmask_b32_e64 v11, 0, 1, vcc_lo
	v_sub_nc_u32_e32 v5, 0x3f1, v27
	v_add_nc_u32_e32 v27, 0xfffffc10, v27
	v_and_or_b32 v11, 0xffe, v14, v11
	v_med3_i32 v14, v28, 0, 13
	v_or_b32_e32 v28, 0x1000, v3
	v_med3_i32 v5, v5, 0, 13
	v_or_b32_e32 v29, 0x1000, v11
	v_lshrrev_b32_e32 v30, v14, v28
	v_lshrrev_b32_e32 v31, v5, v29
	v_lshlrev_b32_e32 v14, v14, v30
	v_lshlrev_b32_e32 v5, v5, v31
	v_cmp_ne_u32_e32 vcc_lo, v14, v28
	v_lshl_or_b32 v28, v13, 12, v3
	v_cndmask_b32_e64 v14, 0, 1, vcc_lo
	v_cmp_ne_u32_e32 vcc_lo, v5, v29
	v_lshl_or_b32 v29, v27, 12, v11
	v_or_b32_e32 v14, v30, v14
	v_cndmask_b32_e64 v5, 0, 1, vcc_lo
	v_cmp_gt_i32_e32 vcc_lo, 1, v13
	v_or_b32_e32 v5, v31, v5
	v_cndmask_b32_e32 v14, v28, v14, vcc_lo
	v_cmp_gt_i32_e32 vcc_lo, 1, v27
	v_and_b32_e32 v28, 7, v14
	v_cndmask_b32_e32 v5, v29, v5, vcc_lo
	v_cmp_ne_u32_e32 vcc_lo, 0, v3
	v_lshrrev_b32_e32 v14, 2, v14
	v_cmp_eq_u32_e64 s0, 3, v28
	v_and_b32_e32 v29, 7, v5
	v_cndmask_b32_e64 v3, 0, 1, vcc_lo
	v_cmp_ne_u32_e32 vcc_lo, 0, v11
	v_lshrrev_b32_e32 v5, 2, v5
	v_cmp_lt_i32_e64 s1, 5, v29
	v_cmp_eq_u32_e64 s2, 3, v29
	v_cndmask_b32_e64 v11, 0, 1, vcc_lo
	v_cmp_lt_i32_e32 vcc_lo, 5, v28
	v_lshl_or_b32 v3, v3, 9, 0x7c00
	v_lshl_or_b32 v11, v11, 9, 0x7c00
	s_or_b32 vcc_lo, s0, vcc_lo
	v_add_co_ci_u32_e32 v14, vcc_lo, 0, v14, vcc_lo
	s_or_b32 vcc_lo, s2, s1
	v_add_co_ci_u32_e32 v5, vcc_lo, 0, v5, vcc_lo
	v_cmp_gt_i32_e32 vcc_lo, 31, v13
	v_cndmask_b32_e32 v14, 0x7c00, v14, vcc_lo
	v_cmp_gt_i32_e32 vcc_lo, 31, v27
	v_cndmask_b32_e32 v5, 0x7c00, v5, vcc_lo
	v_cmp_eq_u32_e32 vcc_lo, 0x40f, v13
	v_cndmask_b32_e32 v3, v14, v3, vcc_lo
	v_cmp_eq_u32_e32 vcc_lo, 0x40f, v27
	v_and_or_b32 v3, 0x8000, v4, v3
	v_cndmask_b32_e32 v5, v5, v11, vcc_lo
	v_add_co_u32 v0, vcc_lo, v0, s6
	v_add_co_ci_u32_e32 v1, vcc_lo, s7, v1, vcc_lo
	v_and_or_b32 v4, 0x8000, v12, v5
	v_and_b32_e32 v3, 0xffff, v3
	v_lshl_or_b32 v3, v4, 16, v3
	s_waitcnt lgkmcnt(5)
	v_lshrrev_b32_e32 v4, 16, v6
	global_store_dword v[0:1], v3, off
	global_load_dword v3, v[25:26], off offset:352
	s_waitcnt vmcnt(0)
	v_mul_f16_sdwa v5, v4, v3 dst_sel:DWORD dst_unused:UNUSED_PAD src0_sel:DWORD src1_sel:WORD_1
	v_mul_f16_sdwa v11, v6, v3 dst_sel:DWORD dst_unused:UNUSED_PAD src0_sel:DWORD src1_sel:WORD_1
	v_fmac_f16_e32 v5, v6, v3
	v_fma_f16 v3, v3, v4, -v11
	v_cvt_f32_f16_e32 v4, v5
	v_cvt_f32_f16_e32 v5, v3
	v_cvt_f64_f32_e32 v[3:4], v4
	v_cvt_f64_f32_e32 v[5:6], v5
	v_mul_f64 v[3:4], v[3:4], s[4:5]
	v_mul_f64 v[5:6], v[5:6], s[4:5]
	v_and_or_b32 v3, 0x1ff, v4, v3
	v_and_or_b32 v5, 0x1ff, v6, v5
	v_lshrrev_b32_e32 v11, 8, v4
	v_bfe_u32 v12, v4, 20, 11
	v_lshrrev_b32_e32 v13, 8, v6
	v_cmp_ne_u32_e32 vcc_lo, 0, v3
	v_bfe_u32 v14, v6, 20, 11
	v_lshrrev_b32_e32 v4, 16, v4
	v_sub_nc_u32_e32 v25, 0x3f1, v12
	v_add_nc_u32_e32 v12, 0xfffffc10, v12
	v_cndmask_b32_e64 v3, 0, 1, vcc_lo
	v_cmp_ne_u32_e32 vcc_lo, 0, v5
	v_lshrrev_b32_e32 v6, 16, v6
	v_and_or_b32 v3, 0xffe, v11, v3
	v_cndmask_b32_e64 v5, 0, 1, vcc_lo
	v_sub_nc_u32_e32 v11, 0x3f1, v14
	v_add_nc_u32_e32 v14, 0xfffffc10, v14
	v_and_or_b32 v5, 0xffe, v13, v5
	v_med3_i32 v13, v25, 0, 13
	v_or_b32_e32 v25, 0x1000, v3
	v_med3_i32 v11, v11, 0, 13
	v_or_b32_e32 v26, 0x1000, v5
	v_lshrrev_b32_e32 v27, v13, v25
	v_lshrrev_b32_e32 v28, v11, v26
	v_lshlrev_b32_e32 v13, v13, v27
	v_lshlrev_b32_e32 v11, v11, v28
	v_cmp_ne_u32_e32 vcc_lo, v13, v25
	v_lshl_or_b32 v25, v12, 12, v3
	v_cndmask_b32_e64 v13, 0, 1, vcc_lo
	v_cmp_ne_u32_e32 vcc_lo, v11, v26
	v_lshl_or_b32 v26, v14, 12, v5
	v_or_b32_e32 v13, v27, v13
	v_cndmask_b32_e64 v11, 0, 1, vcc_lo
	v_cmp_gt_i32_e32 vcc_lo, 1, v12
	v_or_b32_e32 v11, v28, v11
	v_cndmask_b32_e32 v13, v25, v13, vcc_lo
	v_cmp_gt_i32_e32 vcc_lo, 1, v14
	v_and_b32_e32 v25, 7, v13
	v_cndmask_b32_e32 v11, v26, v11, vcc_lo
	v_cmp_ne_u32_e32 vcc_lo, 0, v3
	v_lshrrev_b32_e32 v13, 2, v13
	v_cmp_eq_u32_e64 s0, 3, v25
	v_and_b32_e32 v26, 7, v11
	v_cndmask_b32_e64 v3, 0, 1, vcc_lo
	v_cmp_ne_u32_e32 vcc_lo, 0, v5
	v_lshrrev_b32_e32 v11, 2, v11
	v_cmp_lt_i32_e64 s1, 5, v26
	v_cmp_eq_u32_e64 s2, 3, v26
	v_cndmask_b32_e64 v5, 0, 1, vcc_lo
	v_cmp_lt_i32_e32 vcc_lo, 5, v25
	v_lshl_or_b32 v3, v3, 9, 0x7c00
	v_lshl_or_b32 v5, v5, 9, 0x7c00
	s_or_b32 vcc_lo, s0, vcc_lo
	v_add_co_ci_u32_e32 v13, vcc_lo, 0, v13, vcc_lo
	s_or_b32 vcc_lo, s2, s1
	v_add_co_ci_u32_e32 v11, vcc_lo, 0, v11, vcc_lo
	v_cmp_gt_i32_e32 vcc_lo, 31, v12
	v_cndmask_b32_e32 v13, 0x7c00, v13, vcc_lo
	v_cmp_gt_i32_e32 vcc_lo, 31, v14
	v_cndmask_b32_e32 v11, 0x7c00, v11, vcc_lo
	v_cmp_eq_u32_e32 vcc_lo, 0x40f, v12
	v_cndmask_b32_e32 v3, v13, v3, vcc_lo
	v_cmp_eq_u32_e32 vcc_lo, 0x40f, v14
	v_and_or_b32 v3, 0x8000, v4, v3
	v_cndmask_b32_e32 v5, v11, v5, vcc_lo
	v_add_co_u32 v0, vcc_lo, v0, s6
	v_add_co_ci_u32_e32 v1, vcc_lo, s7, v1, vcc_lo
	v_and_or_b32 v4, 0x8000, v6, v5
	v_and_b32_e32 v3, 0xffff, v3
	v_lshl_or_b32 v3, v4, 16, v3
	s_waitcnt lgkmcnt(4)
	v_lshrrev_b32_e32 v4, 16, v7
	global_store_dword v[0:1], v3, off
	global_load_dword v3, v[23:24], off offset:656
	s_waitcnt vmcnt(0)
	v_mul_f16_sdwa v5, v4, v3 dst_sel:DWORD dst_unused:UNUSED_PAD src0_sel:DWORD src1_sel:WORD_1
	v_mul_f16_sdwa v6, v7, v3 dst_sel:DWORD dst_unused:UNUSED_PAD src0_sel:DWORD src1_sel:WORD_1
	v_fmac_f16_e32 v5, v7, v3
	v_fma_f16 v3, v3, v4, -v6
	v_cvt_f32_f16_e32 v4, v5
	v_cvt_f32_f16_e32 v5, v3
	v_cvt_f64_f32_e32 v[3:4], v4
	v_cvt_f64_f32_e32 v[5:6], v5
	v_mul_f64 v[3:4], v[3:4], s[4:5]
	v_mul_f64 v[5:6], v[5:6], s[4:5]
	v_and_or_b32 v3, 0x1ff, v4, v3
	v_and_or_b32 v5, 0x1ff, v6, v5
	v_lshrrev_b32_e32 v7, 8, v4
	v_bfe_u32 v11, v4, 20, 11
	v_lshrrev_b32_e32 v12, 8, v6
	v_cmp_ne_u32_e32 vcc_lo, 0, v3
	v_bfe_u32 v13, v6, 20, 11
	v_lshrrev_b32_e32 v4, 16, v4
	v_sub_nc_u32_e32 v14, 0x3f1, v11
	v_add_nc_u32_e32 v11, 0xfffffc10, v11
	v_cndmask_b32_e64 v3, 0, 1, vcc_lo
	v_cmp_ne_u32_e32 vcc_lo, 0, v5
	v_lshrrev_b32_e32 v6, 16, v6
	v_and_or_b32 v3, 0xffe, v7, v3
	v_cndmask_b32_e64 v5, 0, 1, vcc_lo
	v_sub_nc_u32_e32 v7, 0x3f1, v13
	v_add_nc_u32_e32 v13, 0xfffffc10, v13
	v_and_or_b32 v5, 0xffe, v12, v5
	v_med3_i32 v12, v14, 0, 13
	v_or_b32_e32 v14, 0x1000, v3
	v_med3_i32 v7, v7, 0, 13
	v_or_b32_e32 v23, 0x1000, v5
	v_lshrrev_b32_e32 v24, v12, v14
	v_lshrrev_b32_e32 v25, v7, v23
	v_lshlrev_b32_e32 v12, v12, v24
	v_lshlrev_b32_e32 v7, v7, v25
	v_cmp_ne_u32_e32 vcc_lo, v12, v14
	v_lshl_or_b32 v14, v11, 12, v3
	v_cndmask_b32_e64 v12, 0, 1, vcc_lo
	v_cmp_ne_u32_e32 vcc_lo, v7, v23
	v_lshl_or_b32 v23, v13, 12, v5
	v_or_b32_e32 v12, v24, v12
	v_cndmask_b32_e64 v7, 0, 1, vcc_lo
	v_cmp_gt_i32_e32 vcc_lo, 1, v11
	v_or_b32_e32 v7, v25, v7
	v_cndmask_b32_e32 v12, v14, v12, vcc_lo
	v_cmp_gt_i32_e32 vcc_lo, 1, v13
	v_and_b32_e32 v14, 7, v12
	v_cndmask_b32_e32 v7, v23, v7, vcc_lo
	v_cmp_ne_u32_e32 vcc_lo, 0, v3
	v_lshrrev_b32_e32 v12, 2, v12
	v_cmp_eq_u32_e64 s0, 3, v14
	v_and_b32_e32 v23, 7, v7
	v_cndmask_b32_e64 v3, 0, 1, vcc_lo
	v_cmp_ne_u32_e32 vcc_lo, 0, v5
	v_lshrrev_b32_e32 v7, 2, v7
	v_cmp_lt_i32_e64 s1, 5, v23
	v_cmp_eq_u32_e64 s2, 3, v23
	v_cndmask_b32_e64 v5, 0, 1, vcc_lo
	v_cmp_lt_i32_e32 vcc_lo, 5, v14
	v_lshl_or_b32 v3, v3, 9, 0x7c00
	v_lshl_or_b32 v5, v5, 9, 0x7c00
	s_or_b32 vcc_lo, s0, vcc_lo
	v_add_co_ci_u32_e32 v12, vcc_lo, 0, v12, vcc_lo
	s_or_b32 vcc_lo, s2, s1
	v_add_co_ci_u32_e32 v7, vcc_lo, 0, v7, vcc_lo
	v_cmp_gt_i32_e32 vcc_lo, 31, v11
	v_cndmask_b32_e32 v12, 0x7c00, v12, vcc_lo
	v_cmp_gt_i32_e32 vcc_lo, 31, v13
	v_cndmask_b32_e32 v7, 0x7c00, v7, vcc_lo
	v_cmp_eq_u32_e32 vcc_lo, 0x40f, v11
	v_cndmask_b32_e32 v3, v12, v3, vcc_lo
	v_cmp_eq_u32_e32 vcc_lo, 0x40f, v13
	v_and_or_b32 v3, 0x8000, v4, v3
	v_cndmask_b32_e32 v5, v7, v5, vcc_lo
	v_add_co_u32 v0, vcc_lo, v0, s6
	v_add_co_ci_u32_e32 v1, vcc_lo, s7, v1, vcc_lo
	v_and_or_b32 v4, 0x8000, v6, v5
	v_and_b32_e32 v3, 0xffff, v3
	v_lshl_or_b32 v3, v4, 16, v3
	s_waitcnt lgkmcnt(3)
	v_lshrrev_b32_e32 v4, 16, v8
	global_store_dword v[0:1], v3, off
	global_load_dword v3, v[19:20], off offset:960
	s_waitcnt vmcnt(0)
	v_mul_f16_sdwa v5, v4, v3 dst_sel:DWORD dst_unused:UNUSED_PAD src0_sel:DWORD src1_sel:WORD_1
	v_mul_f16_sdwa v6, v8, v3 dst_sel:DWORD dst_unused:UNUSED_PAD src0_sel:DWORD src1_sel:WORD_1
	v_fmac_f16_e32 v5, v8, v3
	v_fma_f16 v3, v3, v4, -v6
	v_cvt_f32_f16_e32 v4, v5
	v_cvt_f32_f16_e32 v5, v3
	v_cvt_f64_f32_e32 v[3:4], v4
	v_cvt_f64_f32_e32 v[5:6], v5
	v_mul_f64 v[3:4], v[3:4], s[4:5]
	v_mul_f64 v[5:6], v[5:6], s[4:5]
	v_and_or_b32 v3, 0x1ff, v4, v3
	v_and_or_b32 v5, 0x1ff, v6, v5
	v_lshrrev_b32_e32 v7, 8, v4
	v_bfe_u32 v8, v4, 20, 11
	v_lshrrev_b32_e32 v11, 8, v6
	v_cmp_ne_u32_e32 vcc_lo, 0, v3
	v_bfe_u32 v12, v6, 20, 11
	v_lshrrev_b32_e32 v4, 16, v4
	v_sub_nc_u32_e32 v13, 0x3f1, v8
	v_add_nc_u32_e32 v8, 0xfffffc10, v8
	v_cndmask_b32_e64 v3, 0, 1, vcc_lo
	v_cmp_ne_u32_e32 vcc_lo, 0, v5
	v_lshrrev_b32_e32 v6, 16, v6
	v_and_or_b32 v3, 0xffe, v7, v3
	v_cndmask_b32_e64 v5, 0, 1, vcc_lo
	v_sub_nc_u32_e32 v7, 0x3f1, v12
	v_add_nc_u32_e32 v12, 0xfffffc10, v12
	v_and_or_b32 v5, 0xffe, v11, v5
	v_med3_i32 v11, v13, 0, 13
	v_or_b32_e32 v13, 0x1000, v3
	v_med3_i32 v7, v7, 0, 13
	v_or_b32_e32 v14, 0x1000, v5
	v_lshrrev_b32_e32 v19, v11, v13
	v_lshrrev_b32_e32 v20, v7, v14
	v_lshlrev_b32_e32 v11, v11, v19
	v_lshlrev_b32_e32 v7, v7, v20
	v_cmp_ne_u32_e32 vcc_lo, v11, v13
	v_lshl_or_b32 v13, v8, 12, v3
	v_cndmask_b32_e64 v11, 0, 1, vcc_lo
	v_cmp_ne_u32_e32 vcc_lo, v7, v14
	v_lshl_or_b32 v14, v12, 12, v5
	v_or_b32_e32 v11, v19, v11
	v_cndmask_b32_e64 v7, 0, 1, vcc_lo
	v_cmp_gt_i32_e32 vcc_lo, 1, v8
	v_or_b32_e32 v7, v20, v7
	v_cndmask_b32_e32 v11, v13, v11, vcc_lo
	v_cmp_gt_i32_e32 vcc_lo, 1, v12
	v_and_b32_e32 v13, 7, v11
	v_cndmask_b32_e32 v7, v14, v7, vcc_lo
	v_cmp_ne_u32_e32 vcc_lo, 0, v3
	v_lshrrev_b32_e32 v11, 2, v11
	v_cmp_eq_u32_e64 s0, 3, v13
	v_and_b32_e32 v14, 7, v7
	v_cndmask_b32_e64 v3, 0, 1, vcc_lo
	v_cmp_ne_u32_e32 vcc_lo, 0, v5
	v_lshrrev_b32_e32 v7, 2, v7
	v_cmp_lt_i32_e64 s1, 5, v14
	v_cmp_eq_u32_e64 s2, 3, v14
	v_cndmask_b32_e64 v5, 0, 1, vcc_lo
	v_cmp_lt_i32_e32 vcc_lo, 5, v13
	v_lshl_or_b32 v3, v3, 9, 0x7c00
	v_lshl_or_b32 v5, v5, 9, 0x7c00
	s_or_b32 vcc_lo, s0, vcc_lo
	v_add_co_ci_u32_e32 v11, vcc_lo, 0, v11, vcc_lo
	s_or_b32 vcc_lo, s2, s1
	v_add_co_ci_u32_e32 v7, vcc_lo, 0, v7, vcc_lo
	v_cmp_gt_i32_e32 vcc_lo, 31, v8
	v_cndmask_b32_e32 v11, 0x7c00, v11, vcc_lo
	v_cmp_gt_i32_e32 vcc_lo, 31, v12
	v_cndmask_b32_e32 v7, 0x7c00, v7, vcc_lo
	v_cmp_eq_u32_e32 vcc_lo, 0x40f, v8
	v_cndmask_b32_e32 v3, v11, v3, vcc_lo
	v_cmp_eq_u32_e32 vcc_lo, 0x40f, v12
	v_and_or_b32 v3, 0x8000, v4, v3
	v_cndmask_b32_e32 v5, v7, v5, vcc_lo
	v_add_co_u32 v0, vcc_lo, v0, s6
	v_add_co_ci_u32_e32 v1, vcc_lo, s7, v1, vcc_lo
	v_and_or_b32 v4, 0x8000, v6, v5
	v_and_b32_e32 v3, 0xffff, v3
	v_lshl_or_b32 v3, v4, 16, v3
	s_waitcnt lgkmcnt(2)
	v_lshrrev_b32_e32 v4, 16, v9
	global_store_dword v[0:1], v3, off
	global_load_dword v3, v[17:18], off offset:1264
	s_waitcnt vmcnt(0)
	v_mul_f16_sdwa v5, v4, v3 dst_sel:DWORD dst_unused:UNUSED_PAD src0_sel:DWORD src1_sel:WORD_1
	v_mul_f16_sdwa v6, v9, v3 dst_sel:DWORD dst_unused:UNUSED_PAD src0_sel:DWORD src1_sel:WORD_1
	v_fmac_f16_e32 v5, v9, v3
	v_fma_f16 v3, v3, v4, -v6
	v_cvt_f32_f16_e32 v4, v5
	v_cvt_f32_f16_e32 v5, v3
	v_cvt_f64_f32_e32 v[3:4], v4
	v_cvt_f64_f32_e32 v[5:6], v5
	v_mul_f64 v[3:4], v[3:4], s[4:5]
	v_mul_f64 v[5:6], v[5:6], s[4:5]
	v_and_or_b32 v3, 0x1ff, v4, v3
	v_and_or_b32 v5, 0x1ff, v6, v5
	v_lshrrev_b32_e32 v7, 8, v4
	v_bfe_u32 v8, v4, 20, 11
	v_lshrrev_b32_e32 v9, 8, v6
	v_cmp_ne_u32_e32 vcc_lo, 0, v3
	v_bfe_u32 v11, v6, 20, 11
	v_lshrrev_b32_e32 v4, 16, v4
	v_sub_nc_u32_e32 v12, 0x3f1, v8
	v_add_nc_u32_e32 v8, 0xfffffc10, v8
	v_cndmask_b32_e64 v3, 0, 1, vcc_lo
	v_cmp_ne_u32_e32 vcc_lo, 0, v5
	v_lshrrev_b32_e32 v6, 16, v6
	v_and_or_b32 v3, 0xffe, v7, v3
	v_cndmask_b32_e64 v5, 0, 1, vcc_lo
	v_sub_nc_u32_e32 v7, 0x3f1, v11
	v_add_nc_u32_e32 v11, 0xfffffc10, v11
	v_and_or_b32 v5, 0xffe, v9, v5
	v_med3_i32 v9, v12, 0, 13
	v_or_b32_e32 v12, 0x1000, v3
	v_med3_i32 v7, v7, 0, 13
	v_or_b32_e32 v13, 0x1000, v5
	v_lshrrev_b32_e32 v14, v9, v12
	v_lshrrev_b32_e32 v17, v7, v13
	v_lshlrev_b32_e32 v9, v9, v14
	v_lshlrev_b32_e32 v7, v7, v17
	v_cmp_ne_u32_e32 vcc_lo, v9, v12
	v_lshl_or_b32 v12, v8, 12, v3
	v_cndmask_b32_e64 v9, 0, 1, vcc_lo
	v_cmp_ne_u32_e32 vcc_lo, v7, v13
	v_lshl_or_b32 v13, v11, 12, v5
	v_or_b32_e32 v9, v14, v9
	v_cndmask_b32_e64 v7, 0, 1, vcc_lo
	v_cmp_gt_i32_e32 vcc_lo, 1, v8
	v_or_b32_e32 v7, v17, v7
	v_cndmask_b32_e32 v9, v12, v9, vcc_lo
	v_cmp_gt_i32_e32 vcc_lo, 1, v11
	v_and_b32_e32 v12, 7, v9
	v_cndmask_b32_e32 v7, v13, v7, vcc_lo
	v_cmp_ne_u32_e32 vcc_lo, 0, v3
	v_lshrrev_b32_e32 v9, 2, v9
	v_cmp_eq_u32_e64 s0, 3, v12
	v_and_b32_e32 v13, 7, v7
	v_cndmask_b32_e64 v3, 0, 1, vcc_lo
	v_cmp_ne_u32_e32 vcc_lo, 0, v5
	v_lshrrev_b32_e32 v7, 2, v7
	v_cmp_lt_i32_e64 s1, 5, v13
	v_cmp_eq_u32_e64 s2, 3, v13
	v_cndmask_b32_e64 v5, 0, 1, vcc_lo
	v_cmp_lt_i32_e32 vcc_lo, 5, v12
	v_lshl_or_b32 v3, v3, 9, 0x7c00
	v_lshl_or_b32 v5, v5, 9, 0x7c00
	s_or_b32 vcc_lo, s0, vcc_lo
	v_add_co_ci_u32_e32 v9, vcc_lo, 0, v9, vcc_lo
	s_or_b32 vcc_lo, s2, s1
	v_add_co_ci_u32_e32 v7, vcc_lo, 0, v7, vcc_lo
	v_cmp_gt_i32_e32 vcc_lo, 31, v8
	v_cndmask_b32_e32 v9, 0x7c00, v9, vcc_lo
	v_cmp_gt_i32_e32 vcc_lo, 31, v11
	v_cndmask_b32_e32 v7, 0x7c00, v7, vcc_lo
	v_cmp_eq_u32_e32 vcc_lo, 0x40f, v8
	v_cndmask_b32_e32 v3, v9, v3, vcc_lo
	v_cmp_eq_u32_e32 vcc_lo, 0x40f, v11
	v_and_or_b32 v3, 0x8000, v4, v3
	v_cndmask_b32_e32 v5, v7, v5, vcc_lo
	v_add_co_u32 v0, vcc_lo, v0, s6
	v_add_co_ci_u32_e32 v1, vcc_lo, s7, v1, vcc_lo
	v_and_or_b32 v4, 0x8000, v6, v5
	v_and_b32_e32 v3, 0xffff, v3
	v_lshl_or_b32 v3, v4, 16, v3
	s_waitcnt lgkmcnt(1)
	v_lshrrev_b32_e32 v4, 16, v10
	global_store_dword v[0:1], v3, off
	global_load_dword v3, v[21:22], off offset:1568
	s_waitcnt vmcnt(0)
	v_mul_f16_sdwa v5, v4, v3 dst_sel:DWORD dst_unused:UNUSED_PAD src0_sel:DWORD src1_sel:WORD_1
	v_mul_f16_sdwa v6, v10, v3 dst_sel:DWORD dst_unused:UNUSED_PAD src0_sel:DWORD src1_sel:WORD_1
	v_fmac_f16_e32 v5, v10, v3
	v_fma_f16 v3, v3, v4, -v6
	v_cvt_f32_f16_e32 v4, v5
	v_cvt_f32_f16_e32 v5, v3
	v_cvt_f64_f32_e32 v[3:4], v4
	v_cvt_f64_f32_e32 v[5:6], v5
	v_mul_f64 v[3:4], v[3:4], s[4:5]
	v_mul_f64 v[5:6], v[5:6], s[4:5]
	v_and_or_b32 v3, 0x1ff, v4, v3
	v_and_or_b32 v5, 0x1ff, v6, v5
	v_lshrrev_b32_e32 v7, 8, v4
	v_bfe_u32 v8, v4, 20, 11
	v_lshrrev_b32_e32 v9, 8, v6
	v_cmp_ne_u32_e32 vcc_lo, 0, v3
	v_bfe_u32 v10, v6, 20, 11
	v_lshrrev_b32_e32 v4, 16, v4
	v_sub_nc_u32_e32 v11, 0x3f1, v8
	v_add_nc_u32_e32 v8, 0xfffffc10, v8
	v_cndmask_b32_e64 v3, 0, 1, vcc_lo
	v_cmp_ne_u32_e32 vcc_lo, 0, v5
	v_lshrrev_b32_e32 v6, 16, v6
	v_and_or_b32 v3, 0xffe, v7, v3
	v_cndmask_b32_e64 v5, 0, 1, vcc_lo
	v_sub_nc_u32_e32 v7, 0x3f1, v10
	v_add_nc_u32_e32 v10, 0xfffffc10, v10
	v_and_or_b32 v5, 0xffe, v9, v5
	v_med3_i32 v9, v11, 0, 13
	v_or_b32_e32 v11, 0x1000, v3
	v_med3_i32 v7, v7, 0, 13
	v_or_b32_e32 v12, 0x1000, v5
	v_lshrrev_b32_e32 v13, v9, v11
	v_lshrrev_b32_e32 v14, v7, v12
	v_lshlrev_b32_e32 v9, v9, v13
	v_lshlrev_b32_e32 v7, v7, v14
	v_cmp_ne_u32_e32 vcc_lo, v9, v11
	v_lshl_or_b32 v11, v8, 12, v3
	v_cndmask_b32_e64 v9, 0, 1, vcc_lo
	v_cmp_ne_u32_e32 vcc_lo, v7, v12
	v_lshl_or_b32 v12, v10, 12, v5
	v_or_b32_e32 v9, v13, v9
	v_cndmask_b32_e64 v7, 0, 1, vcc_lo
	v_cmp_gt_i32_e32 vcc_lo, 1, v8
	v_or_b32_e32 v7, v14, v7
	v_cndmask_b32_e32 v9, v11, v9, vcc_lo
	v_cmp_gt_i32_e32 vcc_lo, 1, v10
	v_and_b32_e32 v11, 7, v9
	v_cndmask_b32_e32 v7, v12, v7, vcc_lo
	v_cmp_ne_u32_e32 vcc_lo, 0, v3
	v_lshrrev_b32_e32 v9, 2, v9
	v_cmp_eq_u32_e64 s0, 3, v11
	v_and_b32_e32 v12, 7, v7
	v_cndmask_b32_e64 v3, 0, 1, vcc_lo
	v_cmp_ne_u32_e32 vcc_lo, 0, v5
	v_lshrrev_b32_e32 v7, 2, v7
	v_cmp_lt_i32_e64 s1, 5, v12
	v_cmp_eq_u32_e64 s2, 3, v12
	v_cndmask_b32_e64 v5, 0, 1, vcc_lo
	v_cmp_lt_i32_e32 vcc_lo, 5, v11
	v_lshl_or_b32 v3, v3, 9, 0x7c00
	v_lshl_or_b32 v5, v5, 9, 0x7c00
	s_or_b32 vcc_lo, s0, vcc_lo
	v_add_co_ci_u32_e32 v9, vcc_lo, 0, v9, vcc_lo
	s_or_b32 vcc_lo, s2, s1
	v_add_co_ci_u32_e32 v7, vcc_lo, 0, v7, vcc_lo
	v_cmp_gt_i32_e32 vcc_lo, 31, v8
	v_cndmask_b32_e32 v9, 0x7c00, v9, vcc_lo
	v_cmp_gt_i32_e32 vcc_lo, 31, v10
	v_cndmask_b32_e32 v7, 0x7c00, v7, vcc_lo
	v_cmp_eq_u32_e32 vcc_lo, 0x40f, v8
	v_cndmask_b32_e32 v3, v9, v3, vcc_lo
	v_cmp_eq_u32_e32 vcc_lo, 0x40f, v10
	v_and_or_b32 v3, 0x8000, v4, v3
	v_cndmask_b32_e32 v5, v7, v5, vcc_lo
	v_add_co_u32 v0, vcc_lo, v0, s6
	v_add_co_ci_u32_e32 v1, vcc_lo, s7, v1, vcc_lo
	v_and_or_b32 v4, 0x8000, v6, v5
	v_and_b32_e32 v3, 0xffff, v3
	v_lshl_or_b32 v3, v4, 16, v3
	s_waitcnt lgkmcnt(0)
	v_lshrrev_b32_e32 v4, 16, v2
	global_store_dword v[0:1], v3, off
	global_load_dword v3, v[15:16], off offset:1872
	s_waitcnt vmcnt(0)
	v_mul_f16_sdwa v5, v4, v3 dst_sel:DWORD dst_unused:UNUSED_PAD src0_sel:DWORD src1_sel:WORD_1
	v_mul_f16_sdwa v6, v2, v3 dst_sel:DWORD dst_unused:UNUSED_PAD src0_sel:DWORD src1_sel:WORD_1
	v_fmac_f16_e32 v5, v2, v3
	v_fma_f16 v2, v3, v4, -v6
	v_cvt_f32_f16_e32 v3, v5
	v_cvt_f32_f16_e32 v4, v2
	v_cvt_f64_f32_e32 v[2:3], v3
	v_cvt_f64_f32_e32 v[4:5], v4
	v_mul_f64 v[2:3], v[2:3], s[4:5]
	v_mul_f64 v[4:5], v[4:5], s[4:5]
	v_and_or_b32 v2, 0x1ff, v3, v2
	v_and_or_b32 v4, 0x1ff, v5, v4
	v_lshrrev_b32_e32 v6, 8, v3
	v_bfe_u32 v7, v3, 20, 11
	v_lshrrev_b32_e32 v8, 8, v5
	v_cmp_ne_u32_e32 vcc_lo, 0, v2
	v_bfe_u32 v9, v5, 20, 11
	v_lshrrev_b32_e32 v3, 16, v3
	v_sub_nc_u32_e32 v10, 0x3f1, v7
	v_add_nc_u32_e32 v7, 0xfffffc10, v7
	v_cndmask_b32_e64 v2, 0, 1, vcc_lo
	v_cmp_ne_u32_e32 vcc_lo, 0, v4
	v_lshrrev_b32_e32 v5, 16, v5
	v_and_or_b32 v2, 0xffe, v6, v2
	v_cndmask_b32_e64 v4, 0, 1, vcc_lo
	v_sub_nc_u32_e32 v6, 0x3f1, v9
	v_add_nc_u32_e32 v9, 0xfffffc10, v9
	v_and_or_b32 v4, 0xffe, v8, v4
	v_med3_i32 v8, v10, 0, 13
	v_or_b32_e32 v10, 0x1000, v2
	v_med3_i32 v6, v6, 0, 13
	v_or_b32_e32 v11, 0x1000, v4
	v_lshrrev_b32_e32 v12, v8, v10
	v_lshrrev_b32_e32 v13, v6, v11
	v_lshlrev_b32_e32 v8, v8, v12
	v_lshlrev_b32_e32 v6, v6, v13
	v_cmp_ne_u32_e32 vcc_lo, v8, v10
	v_lshl_or_b32 v10, v7, 12, v2
	v_cndmask_b32_e64 v8, 0, 1, vcc_lo
	v_cmp_ne_u32_e32 vcc_lo, v6, v11
	v_lshl_or_b32 v11, v9, 12, v4
	v_or_b32_e32 v8, v12, v8
	v_cndmask_b32_e64 v6, 0, 1, vcc_lo
	v_cmp_gt_i32_e32 vcc_lo, 1, v7
	v_or_b32_e32 v6, v13, v6
	v_cndmask_b32_e32 v8, v10, v8, vcc_lo
	v_cmp_gt_i32_e32 vcc_lo, 1, v9
	v_and_b32_e32 v10, 7, v8
	v_cndmask_b32_e32 v6, v11, v6, vcc_lo
	v_cmp_ne_u32_e32 vcc_lo, 0, v2
	v_lshrrev_b32_e32 v8, 2, v8
	v_cmp_eq_u32_e64 s0, 3, v10
	v_and_b32_e32 v11, 7, v6
	v_cndmask_b32_e64 v2, 0, 1, vcc_lo
	v_cmp_ne_u32_e32 vcc_lo, 0, v4
	v_lshrrev_b32_e32 v6, 2, v6
	v_cmp_lt_i32_e64 s1, 5, v11
	v_cmp_eq_u32_e64 s2, 3, v11
	v_cndmask_b32_e64 v4, 0, 1, vcc_lo
	v_cmp_lt_i32_e32 vcc_lo, 5, v10
	v_lshl_or_b32 v2, v2, 9, 0x7c00
	v_lshl_or_b32 v4, v4, 9, 0x7c00
	s_or_b32 vcc_lo, s0, vcc_lo
	v_add_co_ci_u32_e32 v8, vcc_lo, 0, v8, vcc_lo
	s_or_b32 vcc_lo, s2, s1
	v_add_co_ci_u32_e32 v6, vcc_lo, 0, v6, vcc_lo
	v_cmp_gt_i32_e32 vcc_lo, 31, v7
	v_cndmask_b32_e32 v8, 0x7c00, v8, vcc_lo
	v_cmp_gt_i32_e32 vcc_lo, 31, v9
	v_cndmask_b32_e32 v6, 0x7c00, v6, vcc_lo
	v_cmp_eq_u32_e32 vcc_lo, 0x40f, v7
	v_cndmask_b32_e32 v2, v8, v2, vcc_lo
	v_cmp_eq_u32_e32 vcc_lo, 0x40f, v9
	v_and_or_b32 v2, 0x8000, v3, v2
	v_cndmask_b32_e32 v4, v6, v4, vcc_lo
	v_add_co_u32 v0, vcc_lo, v0, s6
	v_add_co_ci_u32_e32 v1, vcc_lo, s7, v1, vcc_lo
	v_and_or_b32 v3, 0x8000, v5, v4
	v_and_b32_e32 v2, 0xffff, v2
	v_lshl_or_b32 v2, v3, 16, v2
	global_store_dword v[0:1], v2, off
.LBB0_25:
	s_endpgm
	.section	.rodata,"a",@progbits
	.p2align	6, 0x0
	.amdhsa_kernel bluestein_single_back_len4704_dim1_half_op_CI_CI
		.amdhsa_group_segment_fixed_size 18816
		.amdhsa_private_segment_fixed_size 0
		.amdhsa_kernarg_size 104
		.amdhsa_user_sgpr_count 6
		.amdhsa_user_sgpr_private_segment_buffer 1
		.amdhsa_user_sgpr_dispatch_ptr 0
		.amdhsa_user_sgpr_queue_ptr 0
		.amdhsa_user_sgpr_kernarg_segment_ptr 1
		.amdhsa_user_sgpr_dispatch_id 0
		.amdhsa_user_sgpr_flat_scratch_init 0
		.amdhsa_user_sgpr_private_segment_size 0
		.amdhsa_wavefront_size32 1
		.amdhsa_uses_dynamic_stack 0
		.amdhsa_system_sgpr_private_segment_wavefront_offset 0
		.amdhsa_system_sgpr_workgroup_id_x 1
		.amdhsa_system_sgpr_workgroup_id_y 0
		.amdhsa_system_sgpr_workgroup_id_z 0
		.amdhsa_system_sgpr_workgroup_info 0
		.amdhsa_system_vgpr_workitem_id 0
		.amdhsa_next_free_vgpr 169
		.amdhsa_next_free_sgpr 16
		.amdhsa_reserve_vcc 1
		.amdhsa_reserve_flat_scratch 0
		.amdhsa_float_round_mode_32 0
		.amdhsa_float_round_mode_16_64 0
		.amdhsa_float_denorm_mode_32 3
		.amdhsa_float_denorm_mode_16_64 3
		.amdhsa_dx10_clamp 1
		.amdhsa_ieee_mode 1
		.amdhsa_fp16_overflow 0
		.amdhsa_workgroup_processor_mode 1
		.amdhsa_memory_ordered 1
		.amdhsa_forward_progress 0
		.amdhsa_shared_vgpr_count 0
		.amdhsa_exception_fp_ieee_invalid_op 0
		.amdhsa_exception_fp_denorm_src 0
		.amdhsa_exception_fp_ieee_div_zero 0
		.amdhsa_exception_fp_ieee_overflow 0
		.amdhsa_exception_fp_ieee_underflow 0
		.amdhsa_exception_fp_ieee_inexact 0
		.amdhsa_exception_int_div_zero 0
	.end_amdhsa_kernel
	.text
.Lfunc_end0:
	.size	bluestein_single_back_len4704_dim1_half_op_CI_CI, .Lfunc_end0-bluestein_single_back_len4704_dim1_half_op_CI_CI
                                        ; -- End function
	.section	.AMDGPU.csdata,"",@progbits
; Kernel info:
; codeLenInByte = 38640
; NumSgprs: 18
; NumVgprs: 169
; ScratchSize: 0
; MemoryBound: 0
; FloatMode: 240
; IeeeMode: 1
; LDSByteSize: 18816 bytes/workgroup (compile time only)
; SGPRBlocks: 2
; VGPRBlocks: 21
; NumSGPRsForWavesPerEU: 18
; NumVGPRsForWavesPerEU: 169
; Occupancy: 5
; WaveLimiterHint : 1
; COMPUTE_PGM_RSRC2:SCRATCH_EN: 0
; COMPUTE_PGM_RSRC2:USER_SGPR: 6
; COMPUTE_PGM_RSRC2:TRAP_HANDLER: 0
; COMPUTE_PGM_RSRC2:TGID_X_EN: 1
; COMPUTE_PGM_RSRC2:TGID_Y_EN: 0
; COMPUTE_PGM_RSRC2:TGID_Z_EN: 0
; COMPUTE_PGM_RSRC2:TIDIG_COMP_CNT: 0
	.text
	.p2alignl 6, 3214868480
	.fill 48, 4, 3214868480
	.type	__hip_cuid_ef8fc44009576d03,@object ; @__hip_cuid_ef8fc44009576d03
	.section	.bss,"aw",@nobits
	.globl	__hip_cuid_ef8fc44009576d03
__hip_cuid_ef8fc44009576d03:
	.byte	0                               ; 0x0
	.size	__hip_cuid_ef8fc44009576d03, 1

	.ident	"AMD clang version 19.0.0git (https://github.com/RadeonOpenCompute/llvm-project roc-6.4.0 25133 c7fe45cf4b819c5991fe208aaa96edf142730f1d)"
	.section	".note.GNU-stack","",@progbits
	.addrsig
	.addrsig_sym __hip_cuid_ef8fc44009576d03
	.amdgpu_metadata
---
amdhsa.kernels:
  - .args:
      - .actual_access:  read_only
        .address_space:  global
        .offset:         0
        .size:           8
        .value_kind:     global_buffer
      - .actual_access:  read_only
        .address_space:  global
        .offset:         8
        .size:           8
        .value_kind:     global_buffer
      - .actual_access:  read_only
        .address_space:  global
        .offset:         16
        .size:           8
        .value_kind:     global_buffer
      - .actual_access:  read_only
        .address_space:  global
        .offset:         24
        .size:           8
        .value_kind:     global_buffer
      - .actual_access:  read_only
        .address_space:  global
        .offset:         32
        .size:           8
        .value_kind:     global_buffer
      - .offset:         40
        .size:           8
        .value_kind:     by_value
      - .address_space:  global
        .offset:         48
        .size:           8
        .value_kind:     global_buffer
      - .address_space:  global
        .offset:         56
        .size:           8
        .value_kind:     global_buffer
      - .address_space:  global
        .offset:         64
        .size:           8
        .value_kind:     global_buffer
      - .address_space:  global
        .offset:         72
        .size:           8
        .value_kind:     global_buffer
      - .offset:         80
        .size:           4
        .value_kind:     by_value
      - .address_space:  global
        .offset:         88
        .size:           8
        .value_kind:     global_buffer
      - .address_space:  global
        .offset:         96
        .size:           8
        .value_kind:     global_buffer
    .group_segment_fixed_size: 18816
    .kernarg_segment_align: 8
    .kernarg_segment_size: 104
    .language:       OpenCL C
    .language_version:
      - 2
      - 0
    .max_flat_workgroup_size: 224
    .name:           bluestein_single_back_len4704_dim1_half_op_CI_CI
    .private_segment_fixed_size: 0
    .sgpr_count:     18
    .sgpr_spill_count: 0
    .symbol:         bluestein_single_back_len4704_dim1_half_op_CI_CI.kd
    .uniform_work_group_size: 1
    .uses_dynamic_stack: false
    .vgpr_count:     169
    .vgpr_spill_count: 0
    .wavefront_size: 32
    .workgroup_processor_mode: 1
amdhsa.target:   amdgcn-amd-amdhsa--gfx1030
amdhsa.version:
  - 1
  - 2
...

	.end_amdgpu_metadata
